;; amdgpu-corpus repo=ROCm/Tensile kind=harvested arch=n/a opt=n/a

/******************************************/
/* Function Prefix                        */
/******************************************/



/******************************************/
/* Begin Kernel                           */
/******************************************/

// Component.Signature.SignatureDefault
.amdgcn_target "amdgcn-amd-amdhsa--gfx90a"
.text
.protected Cijk_Alik_Bljk_SB_MT128x128x16_MI32x32x2x1_SN_1LDSB1_APM1_ABV0_ACED0_AF0EM1_AF1EM1_AMAS0_ASE_ASGT_ASLT_ASEM1_AAC0_BL0_BS0_CLR0_DTVA0_DVO0_ETSP_EPS0_EMLL0_FL0_GLVWA1_GLVWB1_GRPM1_GRVW1_GSU1_GSUASB_GLS0_ISA90a_IU1_K1_KLA_LBSPPA128_LBSPPB128_LPA1_LPB1_LDL1_LRVW1_LWPMn1_LDW0_FMA_MIAV0_MO40_MMFGLC_NTA0_NTB0_NTC0_NTD0_NEPBS2_NLCA1_NLCB1_ONLL1_OPLV0_PK0_PAP0_PGR2_PLR9_SIA3_SS1_SU0_SUM0_SUS0_SCIUI1_SPO0_SRVW0_SSO0_SVW1_SNLL0_TSGRA0_TSGRB0_TT2_64_TLDS1_UMLDSA1_UMLDSB1_USFGROn1_VAW1_VSn1_VW1_VWB1_VFLRP0_WSGRA0_WSGRB0_WG64_4_1_WGM8
.globl Cijk_Alik_Bljk_SB_MT128x128x16_MI32x32x2x1_SN_1LDSB1_APM1_ABV0_ACED0_AF0EM1_AF1EM1_AMAS0_ASE_ASGT_ASLT_ASEM1_AAC0_BL0_BS0_CLR0_DTVA0_DVO0_ETSP_EPS0_EMLL0_FL0_GLVWA1_GLVWB1_GRPM1_GRVW1_GSU1_GSUASB_GLS0_ISA90a_IU1_K1_KLA_LBSPPA128_LBSPPB128_LPA1_LPB1_LDL1_LRVW1_LWPMn1_LDW0_FMA_MIAV0_MO40_MMFGLC_NTA0_NTB0_NTC0_NTD0_NEPBS2_NLCA1_NLCB1_ONLL1_OPLV0_PK0_PAP0_PGR2_PLR9_SIA3_SS1_SU0_SUM0_SUS0_SCIUI1_SPO0_SRVW0_SSO0_SVW1_SNLL0_TSGRA0_TSGRB0_TT2_64_TLDS1_UMLDSA1_UMLDSB1_USFGROn1_VAW1_VSn1_VW1_VWB1_VFLRP0_WSGRA0_WSGRB0_WG64_4_1_WGM8
.p2align 8
.type Cijk_Alik_Bljk_SB_MT128x128x16_MI32x32x2x1_SN_1LDSB1_APM1_ABV0_ACED0_AF0EM1_AF1EM1_AMAS0_ASE_ASGT_ASLT_ASEM1_AAC0_BL0_BS0_CLR0_DTVA0_DVO0_ETSP_EPS0_EMLL0_FL0_GLVWA1_GLVWB1_GRPM1_GRVW1_GSU1_GSUASB_GLS0_ISA90a_IU1_K1_KLA_LBSPPA128_LBSPPB128_LPA1_LPB1_LDL1_LRVW1_LWPMn1_LDW0_FMA_MIAV0_MO40_MMFGLC_NTA0_NTB0_NTC0_NTD0_NEPBS2_NLCA1_NLCB1_ONLL1_OPLV0_PK0_PAP0_PGR2_PLR9_SIA3_SS1_SU0_SUM0_SUS0_SCIUI1_SPO0_SRVW0_SSO0_SVW1_SNLL0_TSGRA0_TSGRB0_TT2_64_TLDS1_UMLDSA1_UMLDSB1_USFGROn1_VAW1_VSn1_VW1_VWB1_VFLRP0_WSGRA0_WSGRB0_WG64_4_1_WGM8,@function
.section .rodata,#alloc
.p2align 6
.amdhsa_kernel Cijk_Alik_Bljk_SB_MT128x128x16_MI32x32x2x1_SN_1LDSB1_APM1_ABV0_ACED0_AF0EM1_AF1EM1_AMAS0_ASE_ASGT_ASLT_ASEM1_AAC0_BL0_BS0_CLR0_DTVA0_DVO0_ETSP_EPS0_EMLL0_FL0_GLVWA1_GLVWB1_GRPM1_GRVW1_GSU1_GSUASB_GLS0_ISA90a_IU1_K1_KLA_LBSPPA128_LBSPPB128_LPA1_LPB1_LDL1_LRVW1_LWPMn1_LDW0_FMA_MIAV0_MO40_MMFGLC_NTA0_NTB0_NTC0_NTD0_NEPBS2_NLCA1_NLCB1_ONLL1_OPLV0_PK0_PAP0_PGR2_PLR9_SIA3_SS1_SU0_SUM0_SUS0_SCIUI1_SPO0_SRVW0_SSO0_SVW1_SNLL0_TSGRA0_TSGRB0_TT2_64_TLDS1_UMLDSA1_UMLDSB1_USFGROn1_VAW1_VSn1_VW1_VWB1_VFLRP0_WSGRA0_WSGRB0_WG64_4_1_WGM8
  .amdhsa_user_sgpr_kernarg_segment_ptr 1
  .amdhsa_user_sgpr_kernarg_preload_offset 0
  .amdhsa_user_sgpr_kernarg_preload_length 0
  .amdhsa_user_sgpr_count 2
  .amdhsa_accum_offset 104 // accvgpr offset
  .amdhsa_next_free_vgpr 168 // vgprs
  .amdhsa_next_free_sgpr 44 // sgprs
  .amdhsa_group_segment_fixed_size 16896 // lds bytes
  .amdhsa_private_segment_fixed_size 0
  .amdhsa_system_sgpr_workgroup_id_x 1
  .amdhsa_system_sgpr_workgroup_id_y 1
  .amdhsa_system_sgpr_workgroup_id_z 1
  .amdhsa_system_vgpr_workitem_id 0
  .amdhsa_float_denorm_mode_32 3
  .amdhsa_float_denorm_mode_16_64 3
.end_amdhsa_kernel
.text

/******************************************/
/* Optimizations and Config:              */
/******************************************/
/* ThreadTile= 32 x 2 */
/* SubGroup= 4 x 64 */
/* VectorWidthA=1 */
/* VectorWidthB=1 */
/* GlobalLoadVectorWidthA=1, GlobalLoadVectorWidthB=1 */
/* DirectToLdsA=False */
/* DirectToLdsB=False */
/* UseSgprForGRO=False */
.amdgpu_metadata
---
amdhsa.version:
  - 1
  - 1
amdhsa.target: amdgcn-amd-amdhsa--gfx90a
amdhsa.kernels:
  - .name: Cijk_Alik_Bljk_SB_MT128x128x16_MI32x32x2x1_SN_1LDSB1_APM1_ABV0_ACED0_AF0EM1_AF1EM1_AMAS0_ASE_ASGT_ASLT_ASEM1_AAC0_BL0_BS0_CLR0_DTVA0_DVO0_ETSP_EPS0_EMLL0_FL0_GLVWA1_GLVWB1_GRPM1_GRVW1_GSU1_GSUASB_GLS0_ISA90a_IU1_K1_KLA_LBSPPA128_LBSPPB128_LPA1_LPB1_LDL1_LRVW1_LWPMn1_LDW0_FMA_MIAV0_MO40_MMFGLC_NTA0_NTB0_NTC0_NTD0_NEPBS2_NLCA1_NLCB1_ONLL1_OPLV0_PK0_PAP0_PGR2_PLR9_SIA3_SS1_SU0_SUM0_SUS0_SCIUI1_SPO0_SRVW0_SSO0_SVW1_SNLL0_TSGRA0_TSGRB0_TT2_64_TLDS1_UMLDSA1_UMLDSB1_USFGROn1_VAW1_VSn1_VW1_VWB1_VFLRP0_WSGRA0_WSGRB0_WG64_4_1_WGM8
    .symbol: 'Cijk_Alik_Bljk_SB_MT128x128x16_MI32x32x2x1_SN_1LDSB1_APM1_ABV0_ACED0_AF0EM1_AF1EM1_AMAS0_ASE_ASGT_ASLT_ASEM1_AAC0_BL0_BS0_CLR0_DTVA0_DVO0_ETSP_EPS0_EMLL0_FL0_GLVWA1_GLVWB1_GRPM1_GRVW1_GSU1_GSUASB_GLS0_ISA90a_IU1_K1_KLA_LBSPPA128_LBSPPB128_LPA1_LPB1_LDL1_LRVW1_LWPMn1_LDW0_FMA_MIAV0_MO40_MMFGLC_NTA0_NTB0_NTC0_NTD0_NEPBS2_NLCA1_NLCB1_ONLL1_OPLV0_PK0_PAP0_PGR2_PLR9_SIA3_SS1_SU0_SUM0_SUS0_SCIUI1_SPO0_SRVW0_SSO0_SVW1_SNLL0_TSGRA0_TSGRB0_TT2_64_TLDS1_UMLDSA1_UMLDSB1_USFGROn1_VAW1_VSn1_VW1_VWB1_VFLRP0_WSGRA0_WSGRB0_WG64_4_1_WGM8.kd'
    .language:                   OpenCL C
    .language_version:
      - 2
      - 0
    .args:
      - .name:            Tensor2dSizeA
        .size:            8
        .offset:          0
        .value_kind:      by_value
        .value_type:      u64
      - .name:            Tensor2dSizeB
        .size:            8
        .offset:          8
        .value_kind:      by_value
        .value_type:      u64
      - .name:            AddressD
        .size:            8
        .offset:          16
        .value_kind:      by_value
        .value_type:      u64
      - .name:            AddressC
        .size:            8
        .offset:          24
        .value_kind:      by_value
        .value_type:      u64
      - .name:            AddressA
        .size:            8
        .offset:          32
        .value_kind:      by_value
        .value_type:      u64
      - .name:            AddressB
        .size:            8
        .offset:          40
        .value_kind:      by_value
        .value_type:      u64
      - .name:            Alpha
        .size:            4
        .offset:          48
        .value_kind:      by_value
        .value_type:      u32
      - .name:            Beta
        .size:            4
        .offset:          52
        .value_kind:      by_value
        .value_type:      u32
      - .name:            StridesD
        .size:            8
        .offset:          56
        .value_kind:      by_value
        .value_type:      u64
      - .name:            StridesC
        .size:            8
        .offset:          64
        .value_kind:      by_value
        .value_type:      u64
      - .name:            StridesA
        .size:            8
        .offset:          72
        .value_kind:      by_value
        .value_type:      u64
      - .name:            StridesB
        .size:            8
        .offset:          80
        .value_kind:      by_value
        .value_type:      u64
      - .name:            SizesFree
        .size:            12
        .offset:          88
        .value_kind:      by_value
        .value_type:      u96
      - .name:            SizesSum
        .size:            4
        .offset:          100
        .value_kind:      by_value
        .value_type:      u32
      - .name:            NumWorkGroups0
        .size:            4
        .offset:          104
        .value_kind:      by_value
        .value_type:      u32
      - .name:            NumWorkGroups1
        .size:            4
        .offset:          108
        .value_kind:      by_value
        .value_type:      u32
      - .name:            NumFullBlocks
        .size:            4
        .offset:          112
        .value_kind:      by_value
        .value_type:      u32
      - .name:            WgmRemainder1
        .size:            4
        .offset:          116
        .value_kind:      by_value
        .value_type:      u32
      - .name:            MagicNumberWgmRemainder1
        .size:            4
        .offset:          120
        .value_kind:      by_value
        .value_type:      u32
    .group_segment_fixed_size:   16896
    .kernarg_segment_align:      8
    .kernarg_segment_size:       128
    .max_flat_workgroup_size:    256
    .private_segment_fixed_size: 0
    .sgpr_count:                 44
    .sgpr_spill_count:           0
    .vgpr_count:                 104
    .vgpr_spill_count:           0
    .wavefront_size:             64
...
.end_amdgpu_metadata
Cijk_Alik_Bljk_SB_MT128x128x16_MI32x32x2x1_SN_1LDSB1_APM1_ABV0_ACED0_AF0EM1_AF1EM1_AMAS0_ASE_ASGT_ASLT_ASEM1_AAC0_BL0_BS0_CLR0_DTVA0_DVO0_ETSP_EPS0_EMLL0_FL0_GLVWA1_GLVWB1_GRPM1_GRVW1_GSU1_GSUASB_GLS0_ISA90a_IU1_K1_KLA_LBSPPA128_LBSPPB128_LPA1_LPB1_LDL1_LRVW1_LWPMn1_LDW0_FMA_MIAV0_MO40_MMFGLC_NTA0_NTB0_NTC0_NTD0_NEPBS2_NLCA1_NLCB1_ONLL1_OPLV0_PK0_PAP0_PGR2_PLR9_SIA3_SS1_SU0_SUM0_SUS0_SCIUI1_SPO0_SRVW0_SSO0_SVW1_SNLL0_TSGRA0_TSGRB0_TT2_64_TLDS1_UMLDSA1_UMLDSB1_USFGROn1_VAW1_VSn1_VW1_VWB1_VFLRP0_WSGRA0_WSGRB0_WG64_4_1_WGM8:

/******************************************/
/* Asm syntax workarounds                 */
/******************************************/
.macro _v_add_co_u32 dst:req, cc:req, src0:req, src1:req, dpp=
   v_add_co_u32 \dst, \cc, \src0, \src1 \dpp
.endm

.macro _v_add_u32 dst:req, src0:req, src1:req, dpp=
   v_add_u32 \dst, \src0, \src1 \dpp
.endm

.macro _v_add_i32 dst:req, src0:req, src1:req, dpp=
   v_add_i32 \dst, \src0, \src1 \dpp
.endm

.macro _v_addc_co_u32 dst:req, ccOut:req, src0:req, ccIn:req, src1:req, dpp=
   v_addc_co_u32 \dst, \ccOut, \src0, \ccIn, \src1 \dpp
.endm

.macro _v_sub_co_u32 dst:req, cc:req, src0:req, src1:req, dpp=
   v_sub_co_u32 \dst, \cc, \src0, \src1 \dpp
.endm

.macro _v_sub_u32 dst:req, src0:req, src1:req, dpp=
   v_sub_u32 \dst, \src0, \src1 \dpp
.endm

.macro _v_sub_i32 dst:req, src0:req, src1:req, dpp=
   v_sub_i32 \dst, \src0, \src1 \dpp
.endm

.macro _v_add_lshl_u32 dst:req, src0:req, src1:req, shiftCnt:req
    v_add_lshl_u32 \dst, \src0, \src1, \shiftCnt
.endm

.macro _v_lshl_add_u32 dst:req, src0:req, src1:req, shiftCnt:req
    v_lshl_add_u32 \dst, \src0, \src1, \shiftCnt
.endm

.macro _v_lshl_or_b32 dst:req, src0:req, shiftCnt:req, src1:req
    v_lshl_or_b32 \dst, \src0, \shiftCnt, \src1
.endm

.macro _v_dot2acc_f32_f16 dst, src0, src1
v_dot2c_f32_f16 \dst, \src0, \src1
.endm

.macro _v_cmpx_lt_i16 dst, src0, src1=
   v_cmpx_lt_i16 \dst, \src0, \src1 
.endm

.macro _v_cmpx_lt_i32 dst, src0, src1=
   v_cmpx_lt_i32 \dst, \src0, \src1 
.endm

.macro _v_cmpx_lt_i64 dst, src0, src1=
   v_cmpx_lt_i64 \dst, \src0, \src1 
.endm

.macro _v_cmpx_lt_u16 dst, src0, src1=
   v_cmpx_lt_u16 \dst, \src0, \src1 
.endm

.macro _v_cmpx_lt_u32 dst, src0, src1=
   v_cmpx_lt_u32 \dst, \src0, \src1 
.endm

.macro _v_cmpx_lt_u64 dst, src0, src1=
   v_cmpx_lt_u64 \dst, \src0, \src1 
.endm

.macro _v_cmpx_eq_i16 dst, src0, src1=
   v_cmpx_eq_i16 \dst, \src0, \src1 
.endm

.macro _v_cmpx_eq_i32 dst, src0, src1=
   v_cmpx_eq_i32 \dst, \src0, \src1 
.endm

.macro _v_cmpx_eq_i64 dst, src0, src1=
   v_cmpx_eq_i64 \dst, \src0, \src1 
.endm

.macro _v_cmpx_eq_u16 dst, src0, src1=
   v_cmpx_eq_u16 \dst, \src0, \src1 
.endm

.macro _v_cmpx_eq_u32 dst, src0, src1=
   v_cmpx_eq_u32 \dst, \src0, \src1 
.endm

.macro _v_cmpx_eq_u64 dst, src0, src1=
   v_cmpx_eq_u64 \dst, \src0, \src1 
.endm

.macro _v_cmpx_le_i16 dst, src0, src1=
   v_cmpx_le_i16 \dst, \src0, \src1 
.endm

.macro _v_cmpx_le_i32 dst, src0, src1=
   v_cmpx_le_i32 \dst, \src0, \src1 
.endm

.macro _v_cmpx_le_i64 dst, src0, src1=
   v_cmpx_le_i64 \dst, \src0, \src1 
.endm

.macro _v_cmpx_le_u16 dst, src0, src1=
   v_cmpx_le_u16 \dst, \src0, \src1 
.endm

.macro _v_cmpx_le_u32 dst, src0, src1=
   v_cmpx_le_u32 \dst, \src0, \src1 
.endm

.macro _v_cmpx_le_u64 dst, src0, src1=
   v_cmpx_le_u64 \dst, \src0, \src1 
.endm

.macro _v_cmpx_gt_i16 dst, src0, src1=
   v_cmpx_gt_i16 \dst, \src0, \src1 
.endm

.macro _v_cmpx_gt_i32 dst, src0, src1=
   v_cmpx_gt_i32 \dst, \src0, \src1 
.endm

.macro _v_cmpx_gt_i64 dst, src0, src1=
   v_cmpx_gt_i64 \dst, \src0, \src1 
.endm

.macro _v_cmpx_gt_u16 dst, src0, src1=
   v_cmpx_gt_u16 \dst, \src0, \src1 
.endm

.macro _v_cmpx_gt_u32 dst, src0, src1=
   v_cmpx_gt_u32 \dst, \src0, \src1 
.endm

.macro _v_cmpx_gt_u64 dst, src0, src1=
   v_cmpx_gt_u64 \dst, \src0, \src1 
.endm

.macro _v_cmpx_ne_i16 dst, src0, src1=
   v_cmpx_ne_i16 \dst, \src0, \src1 
.endm

.macro _v_cmpx_ne_i32 dst, src0, src1=
   v_cmpx_ne_i32 \dst, \src0, \src1 
.endm

.macro _v_cmpx_ne_i64 dst, src0, src1=
   v_cmpx_ne_i64 \dst, \src0, \src1 
.endm

.macro _v_cmpx_ne_u16 dst, src0, src1=
   v_cmpx_ne_u16 \dst, \src0, \src1 
.endm

.macro _v_cmpx_ne_u32 dst, src0, src1=
   v_cmpx_ne_u32 \dst, \src0, \src1 
.endm

.macro _v_cmpx_ne_u64 dst, src0, src1=
   v_cmpx_ne_u64 \dst, \src0, \src1 
.endm

.macro _v_cmpx_lg_i16 dst, src0, src1=
   v_cmpx_lg_i16 \dst, \src0, \src1 
.endm

.macro _v_cmpx_lg_i32 dst, src0, src1=
   v_cmpx_lg_i32 \dst, \src0, \src1 
.endm

.macro _v_cmpx_lg_i64 dst, src0, src1=
   v_cmpx_lg_i64 \dst, \src0, \src1 
.endm

.macro _v_cmpx_lg_u16 dst, src0, src1=
   v_cmpx_lg_u16 \dst, \src0, \src1 
.endm

.macro _v_cmpx_lg_u32 dst, src0, src1=
   v_cmpx_lg_u32 \dst, \src0, \src1 
.endm

.macro _v_cmpx_lg_u64 dst, src0, src1=
   v_cmpx_lg_u64 \dst, \src0, \src1 
.endm

.macro _v_cmpx_ge_i16 dst, src0, src1=
   v_cmpx_ge_i16 \dst, \src0, \src1 
.endm

.macro _v_cmpx_ge_i32 dst, src0, src1=
   v_cmpx_ge_i32 \dst, \src0, \src1 
.endm

.macro _v_cmpx_ge_i64 dst, src0, src1=
   v_cmpx_ge_i64 \dst, \src0, \src1 
.endm

.macro _v_cmpx_ge_u16 dst, src0, src1=
   v_cmpx_ge_u16 \dst, \src0, \src1 
.endm

.macro _v_cmpx_ge_u32 dst, src0, src1=
   v_cmpx_ge_u32 \dst, \src0, \src1 
.endm

.macro _v_cmpx_ge_u64 dst, src0, src1=
   v_cmpx_ge_u64 \dst, \src0, \src1 
.endm

.macro _v_cmpx_o_i16 dst, src0, src1=
   v_cmpx_o_i16 \dst, \src0, \src1 
.endm

.macro _v_cmpx_o_i32 dst, src0, src1=
   v_cmpx_o_i32 \dst, \src0, \src1 
.endm

.macro _v_cmpx_o_i64 dst, src0, src1=
   v_cmpx_o_i64 \dst, \src0, \src1 
.endm

.macro _v_cmpx_o_u16 dst, src0, src1=
   v_cmpx_o_u16 \dst, \src0, \src1 
.endm

.macro _v_cmpx_o_u32 dst, src0, src1=
   v_cmpx_o_u32 \dst, \src0, \src1 
.endm

.macro _v_cmpx_o_u64 dst, src0, src1=
   v_cmpx_o_u64 \dst, \src0, \src1 
.endm

.macro _v_cmpx_u_i16 dst, src0, src1=
   v_cmpx_u_i16 \dst, \src0, \src1 
.endm

.macro _v_cmpx_u_i32 dst, src0, src1=
   v_cmpx_u_i32 \dst, \src0, \src1 
.endm

.macro _v_cmpx_u_i64 dst, src0, src1=
   v_cmpx_u_i64 \dst, \src0, \src1 
.endm

.macro _v_cmpx_u_u16 dst, src0, src1=
   v_cmpx_u_u16 \dst, \src0, \src1 
.endm

.macro _v_cmpx_u_u32 dst, src0, src1=
   v_cmpx_u_u32 \dst, \src0, \src1 
.endm

.macro _v_cmpx_u_u64 dst, src0, src1=
   v_cmpx_u_u64 \dst, \src0, \src1 
.endm
.macro _v_mac_f32 c:req, a:req, b:req
    v_fmac_f32 \c, \a, \b
.endmacro

/* scale global load macros */
.macro _s_load_b32 dst base offset
    s_load_dword \dst \base \offset
.endm

.macro _s_load_b64 dst base offset
    s_load_dwordx2 \dst \base \offset
.endm

.macro _s_load_b128 dst base offset
    s_load_dwordx4 \dst \base \offset
.endm

.macro _s_load_b256 dst base offset
    s_load_dwordx8 \dst \base \offset
.endm

.macro _s_load_b512 dst base offset
    s_load_dwordx16 \dst \base \offset
.endm


/* ds operation macros */
.macro _ds_load_u8 dst src offset
    ds_read_u8 \dst \src \offset
.endm

.macro _ds_load_u8_d16_hi dst src offset
    ds_read_u8_d16_hi \dst \src \offset
.endm

.macro _ds_load_u16 dst src offset
    ds_read_u16 \dst \src \offset
.endm

.macro _ds_load_u16_d16_hi dst src offset
    ds_read_u16_d16_hi \dst \src \offset
.endm

.macro _ds_load_b32 dst src offset
    ds_read_b32 \dst \src \offset
.endm

.macro _ds_load_b64 dst src offset
    ds_read_b64 \dst \src \offset
.endm

.macro _ds_load_b128 dst src offset
    ds_read_b128 \dst \src \offset
.endm

.macro _ds_store_b8 dst src offset
    ds_write_b8 \dst \src \offset
.endm

.macro _ds_store_b8_d16_hi dst src offset
    ds_write_b8_d16_hi \dst \src \offset
.endm

.macro _ds_store_b16 dst src offset
    ds_write_b16 \dst \src \offset
.endm

.macro _ds_store_b16_d16_hi dst src offset
    ds_write_b16_d16_hi \dst \src \offset
.endm

.macro _ds_store_b32 dst src offset
    ds_write_b32 \dst \src \offset
.endm

.macro _ds_store_b64 dst src offset
    ds_write_b64 \dst \src \offset
.endm

.macro _ds_store_b128 dst src offset
    ds_write_b128 \dst \src \offset
.endm

.macro _ds_load2_b32 dst src offset1 offset2
    ds_read2_b32 \dst \src \offset1 \offset2
.endm

.macro _ds_load2_b64 dst src offset1 offset2
    ds_read2_b64 \dst \src \offset1 \offset2
.endm

.macro _ds_store2_b32 dst src offset1 offset2
    ds_write2_b32 \dst \src \offset1 \offset2
.endm

.macro _ds_store2_b64 dst src offset1 offset2
    ds_write2_b64 \dst \src \offset1 \offset2
.endm


/* buffer memory operation macros */
.macro _buffer_load_b32 dst voffset base soffset offen ioffset md0 md1 md2
    buffer_load_dword \dst \voffset \base \soffset \offen \ioffset \md0 \md1 \md2
.endm

.macro _buffer_load_b64 dst voffset base soffset offen ioffset md0 md1 md2
    buffer_load_dwordx2 \dst \voffset \base \soffset \offen \ioffset \md0 \md1 \md2
.endm

.macro _buffer_load_b96 dst voffset base soffset offen ioffset md0 md1 md2
    buffer_load_dwordx3 \dst \voffset \base \soffset \offen \ioffset \md0 \md1 \md2
.endm

.macro _buffer_load_b128 dst voffset base soffset offen ioffset md0 md1 md2
    buffer_load_dwordx4 \dst \voffset \base \soffset \offen \ioffset \md0 \md1 \md2
.endm

.macro _buffer_load_d16_b16 dst voffset base soffset offen ioffset md0 md1 md2
    buffer_load_short_d16 \dst \voffset \base \soffset \offen \ioffset \md0 \md1 \md2
.endm

.macro _buffer_load_d16_hi_b16 dst voffset base soffset offen ioffset md0 md1 md2
    buffer_load_short_d16_hi \dst \voffset \base \soffset \offen \ioffset \md0 \md1 \md2
.endm

.macro _buffer_load_d16_u8 dst voffset base soffset offen ioffset md0 md1 md2
    buffer_load_ubyte_d16 \dst \voffset \base \soffset \offen \ioffset \md0 \md1 \md2
.endm

.macro _buffer_load_d16_hi_u8 dst voffset base soffset offen ioffset md0 md1 md2
    buffer_load_ubyte_d16_hi \dst \voffset \base \soffset \offen \ioffset \md0 \md1 \md2
.endm

.macro _buffer_load_u16 dst voffset base soffset offen ioffset md0 md1 md2
    buffer_load_ushort \dst \voffset \base \soffset \offen \ioffset \md0 \md1 \md2
.endm

.macro _buffer_load_b32_dtl voffset base soffset offen ioffset md0 md1 md2
    buffer_load_dword \voffset \base \soffset \offen \ioffset \md0 \md1 \md2
.endm

.macro _buffer_load_b64_dtl voffset base soffset offen ioffset md0 md1 md2
    buffer_load_dwordx2 \voffset \base \soffset \offen \ioffset \md0 \md1 \md2
.endm

.macro _buffer_load_b128_dtl voffset base soffset offen ioffset md0 md1 md2
    buffer_load_dwordx4 \voffset \base \soffset \offen \ioffset \md0 \md1 \md2
.endm

.macro _buffer_load_u16_dtl voffset base soffset offen ioffset md0 md1 md2
    buffer_load_ushort \voffset \base \soffset \offen \ioffset \md0 \md1 \md2
.endm

.macro _buffer_store_b32 src voffset base soffset offen ioffset md0 md1 md2
    buffer_store_dword \src \voffset \base \soffset \offen \ioffset \md0 \md1 \md2
.endm

.macro _buffer_store_b64 src voffset base soffset offen ioffset md0 md1 md2
    buffer_store_dwordx2 \src \voffset \base \soffset \offen \ioffset \md0 \md1 \md2
.endm

.macro _buffer_store_b96 src voffset base soffset offen ioffset md0 md1 md2
    buffer_store_dwordx3 \src \voffset \base \soffset \offen \ioffset \md0 \md1 \md2
.endm

.macro _buffer_store_b128 src voffset base soffset offen ioffset md0 md1 md2
    buffer_store_dwordx4 \src \voffset \base \soffset \offen \ioffset \md0 \md1 \md2
.endm

.macro _buffer_store_b16 src voffset base soffset offen ioffset md0 md1 md2
    buffer_store_short \src \voffset \base \soffset \offen \ioffset \md0 \md1 \md2
.endm

.macro _buffer_store_d16_hi_b16 src voffset base soffset offen ioffset md0 md1 md2
    buffer_store_short_d16_hi \src \voffset \base \soffset \offen \ioffset \md0 \md1 \md2
.endm

.macro _buffer_store_b8 src voffset base soffset offen ioffset md0 md1 md2
    buffer_store_byte \src \voffset \base \soffset \offen \ioffset \md0 \md1 \md2
.endm

.macro _buffer_store_d16_hi_b8 src voffset base soffset offen ioffset md0 md1 md2
    buffer_store_byte_d16_hi \src \voffset \base \soffset \offen \ioffset \md0 \md1 \md2
.endm

.macro _buffer_atomic_cmpswap_b32 dst voffset base soffset offen ioffset md0 md1 md2
    buffer_atomic_cmpswap \dst \voffset \base \soffset \offen \ioffset \md0 \md1 \md2
.endm

.macro _buffer_atomic_cmpswap_b64 dst voffset base soffset offen ioffset md0 md1 md2
    buffer_atomic_cmpswap_x2 \dst \voffset \base \soffset \offen \ioffset \md0 \md1 \md2
.endm


/* buffer memory operation macros */
.macro _global_load_b32 dst base src ioffset md0 md1 md2
    global_load_dword \dst \base \src \ioffset \md0 \md1 \md2
.endm

.macro _global_load_b64 dst base src ioffset md0 md1 md2
    global_load_dwordx2 \dst \base \src \ioffset \md0 \md1 \md2
.endm

.macro _global_load_b96 dst base src ioffset md0 md1 md2
    global_load_dwordx3 \dst \base \src \ioffset \md0 \md1 \md2
.endm

.macro _global_load_b128 dst base src ioffset md0 md1 md2
    global_load_dwordx4 \dst \base \src \ioffset \md0 \md1 \md2
.endm

.macro _global_load_d16_b16 dst base src ioffset md0 md1 md2
    global_load_short_d16 \dst \base \src \ioffset \md0 \md1 \md2
.endm

.macro _global_load_d16_hi_b16 dst base src ioffset md0 md1 md2
    global_load_short_d16_hi \dst \base \src \ioffset \md0 \md1 \md2
.endm

.macro _global_load_d16_u8 dst base src ioffset md0 md1 md2
    global_load_ubyte_d16 \dst \base \src \ioffset \md0 \md1 \md2
.endm

.macro _global_load_d16_hi_u8 dst base src ioffset md0 md1 md2
    global_load_ubyte_d16_hi \dst \base \src \ioffset \md0 \md1 \md2
.endm

.macro _global_load_u16 dst base src ioffset md0 md1 md2
    global_load_ushort \dst \base \src \ioffset \md0 \md1 \md2
.endm

.macro _global_store_b32 base src src2 md0 md1 md2
    global_store_dword \base \src \src2 \md0 \md1 \md2
.endm

.macro _global_store_b64 base src src2 md0 md1 md2
    global_store_dwordx2 \base \src \src2 \md0 \md1 \md2
.endm

.macro _global_store_b96 base src src2 md0 md1 md2
    global_store_dwordx3 \base \src \src2 \md0 \md1 \md2
.endm

.macro _global_store_b128 base src src2 md0 md1 md2
    global_store_dwordx4 \base \src \src2 \md0 \md1 \md2
.endm

.macro _global_store_d16_b16 base src src2 md0 md1 md2
    global_store_short \base \src \src2 \md0 \md1 \md2
.endm

.macro _global_store_d16_hi_b16 base src src2 md0 md1 md2
    global_store_short_d16_hi \base \src \src2 \md0 \md1 \md2
.endm

.macro _global_store_d16_u8 base src src2 md0 md1 md2
    global_store_ubyte_d16 \base \src \src2 \md0 \md1 \md2
.endm

.macro _global_store_d16_hi_u8 base src src2 md0 md1 md2
    global_store_ubyte_d16_hi \base \src \src2 \md0 \md1 \md2
.endm

.macro _global_store_u16 base src src2 md0 md1 md2
    global_store_ushort \base \src \src2 \md0 \md1 \md2
.endm

.macro _global_atomic_cmpswap_b32 tmp base data src ioffset md
    global_atomic_cmpswap \tmp \base \data \src \ioffset \md
.endm

.macro _global_atomic_cmpswap_b64 tmp base data src ioffset md
    global_atomic_cmpswap_x2 \tmp \base \data \src \ioffset \md
.endm


/******************************************/
/* Magic div and mod functions            */
/******************************************/
.macro V_MAGIC_DIV dstIdx:req, dividend:req, magicNumber:req, magicShift:req, magicA:req
    v_mul_hi_u32 v[\dstIdx+1], \dividend, \magicNumber
    v_mul_lo_u32 v[\dstIdx+0], \dividend, \magicA
    _v_add_u32 v[\dstIdx+0], v[\dstIdx+0], v[\dstIdx+1]
    v_lshrrev_b32 v[\dstIdx+0], \magicShift, v[\dstIdx+0]
.endm

/******************************************/
/* VGPR Assignments                       */
/******************************************/
/* ValuC range: [0-0), serializedStore enabled */
.set vgprValuC, 0
/* ValuA/B   Xn=PLR buffer idx,  In=InnerUnroll idx */
.set vgprValuA_X0_I0, 0
.set vgprValuA_X1_I0, 2
.set vgprValuA_X2_I0, 4
.set vgprValuA_X3_I0, 6
.set vgprValuA_X4_I0, 8
.set vgprValuA_X5_I0, 10
.set vgprValuA_X6_I0, 12
.set vgprValuA_X7_I0, 14
.set vgprG2LA, 70
.set vgprValuB_X0_I0, 16
.set vgprValuB_X1_I0, 18
.set vgprValuB_X2_I0, 20
.set vgprValuB_X3_I0, 22
.set vgprValuB_X4_I0, 24
.set vgprValuB_X5_I0, 26
.set vgprValuB_X6_I0, 28
.set vgprValuB_X7_I0, 30
.set vgprG2LB, 78
.set vgprLocalWriteAddrA, 32
.set vgprLocalWriteAddrB, 33
.set vgprGlobalReadAddrA, 34
.set vgprGlobalReadAddrB, 50
.set vgprGlobalReadIncsA, 66
.set vgprGlobalReadIncsB, 68
.set vgprLocalReadAddrA, 86
.set vgprLocalReadAddrB, 87
.set vgprSerial, 88
/* Num VGPR=104 */
/* Num AccVGPR=64 */

/******************************************/
/* SGPR Assignments                       */
/******************************************/
.set sgprKernArgAddress, 0 // (2)
.set sgprWorkGroup0, 2 // (1)
.set sgprWorkGroup1, 3 // (1)
.set sgprWorkGroup2, 4 // (1)
.set sgprLoopCounterL, 5 // (1)
.set sgprOrigLoopCounter, 6 // (1)
.set sgprTensor2dSizeA, 8 // (2)
.set sgprTensor2dSizeB, 10 // (2)
.set sgprAddressD, 12 // (2)
.set sgprAddressC, 14 // (2)
.set sgprAddressA, 16 // (2)
.set sgprAddressB, 18 // (2)
.set sgprAlpha, 20 // (1)
.set sgprBeta, 21 // (1)
.set sgprStridesD, 22 // (2)
.set sgprStridesC, 24 // (2)
.set sgprStridesA, 26 // (2)
.set sgprStridesB, 28 // (2)
.set sgprSizesFree, 30 // (3)
.set sgprSizesSum, 33 // (1)
.set sgprNumWorkGroups0, 34 // (1)
.set sgprNumWorkGroups1, 35 // (1)
.set sgprNumFullBlocks, 36 // (1)
.set sgprWgmRemainder1, 37 // (1)
.set sgprMagicNumberWgmRemainder1, 38 // (1)
/* max SGPR=44 */

/* Size Assignments */
.set sgprSizeI, sgprSizesFree+0
.set sgprSizeJ, sgprSizesFree+1
.set sgprSizeK, sgprSizesFree+2
.set sgprSizeL, sgprSizesSum+0

/* Stride Assignments */
.set constStrideD0I, 1
.set sgprStrideD1J, sgprStridesD+0
.set sgprStrideDK, sgprStridesD+1
.set constStrideC0I, 1
.set sgprStrideC1J, sgprStridesC+0
.set sgprStrideCK, sgprStridesC+1
.set constStrideAL, 1
.set sgprStrideA0I, sgprStridesA+0
.set sgprStrideAK, sgprStridesA+1
.set constStrideBL, 1
.set sgprStrideB1J, sgprStridesB+0
.set sgprStrideBK, sgprStridesB+1

.set MT0, 128
.set MT1, 128
.set DepthU, 16
.set GSU, 1
.set BpeA, 4
.set BpeALog2, 2
.set BpeB, 4
.set BpeBLog2, 2
/* Number of elements to shift-left SRD */
.set SrdShiftLeftA, 1
.set SrdShiftLeftB, 1

/* Global Offset D */
.macro GLOBAL_OFFSET_D vgprAddr:req vgprOffset0I:req vgprOffset1J:req sgprOffsetK:req vgprTmp:req
v_mul_lo_u32 v[\vgprTmp+0], s[sgprStrideD1J], v[\vgprOffset1J] // mul d1 lower
v_mul_hi_u32 v[\vgprTmp+1], s[sgprStrideD1J], v[\vgprOffset1J] // mul d1 upper
_v_add_co_u32 v[\vgprAddr+0], vcc, v[\vgprOffset0I], v[\vgprTmp+0] // accumulate K lower
_v_addc_co_u32 v[\vgprAddr+1], vcc, v[\vgprTmp+1], 0, vcc // accumulate K upper
v_mov_b32 v[\vgprTmp+2], s[\sgprOffsetK]           // sgprOffset -> vgprTmp+2
v_mul_lo_u32 v[\vgprTmp+0], s[sgprStrideDK], v[\vgprTmp+2] // other stride mul d2 lower
v_mul_hi_u32 v[\vgprTmp+1], s[sgprStrideDK], v[\vgprTmp+2] // mul d2 upper
_v_add_co_u32 v[\vgprAddr+0], vcc, v[\vgprAddr+0], v[\vgprTmp+0] // accumulate K lower
_v_addc_co_u32 v[\vgprAddr+1], vcc, v[\vgprTmp+1], v[\vgprAddr+1], vcc // accumulate K upper
v_lshlrev_b64 v[\vgprAddr+0:\vgprAddr+1], 0x2, v[\vgprAddr+0:\vgprAddr+1] // offset *= bytes/element
.endm

/* Global Offset C */
.macro GLOBAL_OFFSET_C vgprAddr:req vgprOffset0I:req vgprOffset1J:req sgprOffsetK:req vgprTmp:req
v_mul_lo_u32 v[\vgprTmp+0], s[sgprStrideC1J], v[\vgprOffset1J] // mul d1 lower
v_mul_hi_u32 v[\vgprTmp+1], s[sgprStrideC1J], v[\vgprOffset1J] // mul d1 upper
_v_add_co_u32 v[\vgprAddr+0], vcc, v[\vgprOffset0I], v[\vgprTmp+0] // accumulate K lower
_v_addc_co_u32 v[\vgprAddr+1], vcc, v[\vgprTmp+1], 0, vcc // accumulate K upper
v_mov_b32 v[\vgprTmp+2], s[\sgprOffsetK]           // sgprOffset -> vgprTmp+2
v_mul_lo_u32 v[\vgprTmp+0], s[sgprStrideCK], v[\vgprTmp+2] // other stride mul d2 lower
v_mul_hi_u32 v[\vgprTmp+1], s[sgprStrideCK], v[\vgprTmp+2] // mul d2 upper
_v_add_co_u32 v[\vgprAddr+0], vcc, v[\vgprAddr+0], v[\vgprTmp+0] // accumulate K lower
_v_addc_co_u32 v[\vgprAddr+1], vcc, v[\vgprTmp+1], v[\vgprAddr+1], vcc // accumulate K upper
v_lshlrev_b64 v[\vgprAddr+0:\vgprAddr+1], 0x2, v[\vgprAddr+0:\vgprAddr+1] // offset *= bytes/element
.endm

/* Global Offset A */
.macro GLOBAL_OFFSET_A vgprAddr:req vgprOffsetL:req vgprOffset0I:req sgprOffsetK:req vgprTmp:req
v_mul_lo_u32 v[\vgprTmp+0], s[sgprStrideA0I], v[\vgprOffset0I] // mul d1 lower
v_mul_hi_u32 v[\vgprTmp+1], s[sgprStrideA0I], v[\vgprOffset0I] // mul d1 upper
_v_add_co_u32 v[\vgprAddr+0], vcc, v[\vgprOffsetL], v[\vgprTmp+0] // accumulate K lower
_v_addc_co_u32 v[\vgprAddr+1], vcc, v[\vgprTmp+1], 0, vcc // accumulate K upper
v_mov_b32 v[\vgprTmp+2], s[\sgprOffsetK]           // sgprOffset -> vgprTmp+2
v_mul_lo_u32 v[\vgprTmp+0], s[sgprStrideAK], v[\vgprTmp+2] // other stride mul d2 lower
v_mul_hi_u32 v[\vgprTmp+1], s[sgprStrideAK], v[\vgprTmp+2] // mul d2 upper
_v_add_co_u32 v[\vgprAddr+0], vcc, v[\vgprAddr+0], v[\vgprTmp+0] // accumulate K lower
_v_addc_co_u32 v[\vgprAddr+1], vcc, v[\vgprTmp+1], v[\vgprAddr+1], vcc // accumulate K upper
v_lshlrev_b64 v[\vgprAddr+0:\vgprAddr+1], 0x2, v[\vgprAddr+0:\vgprAddr+1] // offset *= bytes/element
.endm

/* Global Offset B */
.macro GLOBAL_OFFSET_B vgprAddr:req vgprOffsetL:req vgprOffset1J:req sgprOffsetK:req vgprTmp:req
v_mul_lo_u32 v[\vgprTmp+0], s[sgprStrideB1J], v[\vgprOffset1J] // mul d1 lower
v_mul_hi_u32 v[\vgprTmp+1], s[sgprStrideB1J], v[\vgprOffset1J] // mul d1 upper
_v_add_co_u32 v[\vgprAddr+0], vcc, v[\vgprOffsetL], v[\vgprTmp+0] // accumulate K lower
_v_addc_co_u32 v[\vgprAddr+1], vcc, v[\vgprTmp+1], 0, vcc // accumulate K upper
v_mov_b32 v[\vgprTmp+2], s[\sgprOffsetK]           // sgprOffset -> vgprTmp+2
v_mul_lo_u32 v[\vgprTmp+0], s[sgprStrideBK], v[\vgprTmp+2] // other stride mul d2 lower
v_mul_hi_u32 v[\vgprTmp+1], s[sgprStrideBK], v[\vgprTmp+2] // mul d2 upper
_v_add_co_u32 v[\vgprAddr+0], vcc, v[\vgprAddr+0], v[\vgprTmp+0] // accumulate K lower
_v_addc_co_u32 v[\vgprAddr+1], vcc, v[\vgprTmp+1], v[\vgprAddr+1], vcc // accumulate K upper
v_lshlrev_b64 v[\vgprAddr+0:\vgprAddr+1], 0x2, v[\vgprAddr+0:\vgprAddr+1] // offset *= bytes/element
.endm

/******************************************/
/* Dynamic Scalar Divide: vQuotient=vDividend/vDivisor; vRemainder=vDividend%vDivisor; */
/******************************************/
.macro DYNAMIC_VECTOR_DIVIDE vQuotient vRemainder vDividend vDivisor vTmp0 vTmp1 sTmp
v_cvt_f32_u32 v[\vQuotient], v[\vDivisor]          // 
v_rcp_f32 v[\vQuotient], v[\vQuotient]             // 
v_mul_f32 v[\vQuotient], 0x4f800000, v[\vQuotient] // 
v_cvt_u32_f32 v[\vQuotient], v[\vQuotient]         // 
v_mul_lo_u32 v[\vRemainder], v[\vDivisor], v[\vQuotient] // 
v_mul_hi_u32 v[\vTmp0], v[\vDivisor], v[\vQuotient] // 
_v_sub_co_u32 v[\vTmp1], vcc, 0x0, v[\vRemainder]  // 
v_cmp_ne_i32 s[\sTmp:\sTmp+1], 0x0, v[\vTmp0]      // 
v_cndmask_b32 v[\vRemainder], v[\vTmp1], v[\vRemainder], s[\sTmp:\sTmp+1] // 
v_mul_hi_u32 v[\vRemainder], v[\vRemainder], v[\vQuotient] // 
_v_sub_co_u32 v[\vTmp0], vcc, v[\vQuotient], v[\vRemainder] // 
_v_add_co_u32 v[\vQuotient], vcc, v[\vQuotient], v[\vRemainder] // 
v_cndmask_b32 v[\vQuotient], v[\vQuotient], v[\vTmp0], s[\sTmp:\sTmp+1] // 
v_mul_hi_u32 v[\vQuotient], v[\vQuotient], v[\vDividend] // 
v_mul_lo_u32 v[\vRemainder], v[\vQuotient], v[\vDivisor] // 
_v_sub_co_u32 v[\vTmp0], vcc, v[\vDividend], v[\vRemainder] // 
v_cmp_ge_u32 s[\sTmp:\sTmp+1], v[\vDividend], v[\vRemainder] // 
_v_add_co_u32 v[\vRemainder], vcc, 0x1, v[\vQuotient] // 
_v_add_co_u32 v[\vTmp1], vcc, -1, v[\vQuotient]    // 
v_cmp_le_u32 vcc, v[\vDivisor], v[\vTmp0]          // 
s_and_b64 vcc, s[\sTmp:\sTmp+1], vcc               // 
v_cndmask_b32 v[\vQuotient], v[\vQuotient], v[\vRemainder], vcc // 
v_cndmask_b32 v[\vQuotient], v[\vTmp1], v[\vQuotient], s[\sTmp:\sTmp+1] // 
v_cmp_ne_i32 vcc, 0x0, v[\vDivisor]                // 
v_cndmask_b32 v[\vQuotient], -1, v[\vQuotient], vcc // final result
v_mul_lo_u32 v[\vRemainder], v[\vQuotient], v[\vDivisor] // 
_v_sub_co_u32 v[\vRemainder], vcc, v[\vDividend], v[\vRemainder] // final result
.endm


	;; [unrolled: 1-line block ×3, first 2 shown]
/******************************************/
/* Allocate Resources                     */
/******************************************/

Cijk_Alik_Bljk_SB_MT128x128x16_MI32x32x2x1_SN_1LDSB1_APM1_ABV0_ACED0_AF0EM1_AF1EM1_AMAS0_ASE_ASGT_ASLT_ASEM1_AAC0_BL0_BS0_CLR0_DTVA0_DVO0_ETSP_EPS0_EMLL0_FL0_GLVWA1_GLVWB1_GRPM1_GRVW1_GSU1_GSUASB_GLS0_ISA90a_IU1_K1_KLA_LBSPPA128_LBSPPB128_LPA1_LPB1_LDL1_LRVW1_LWPMn1_LDW0_FMA_MIAV0_MO40_MMFGLC_NTA0_NTB0_NTC0_NTD0_NEPBS2_NLCA1_NLCB1_ONLL1_OPLV0_PK0_PAP0_PGR2_PLR9_SIA3_SS1_SU0_SUM0_SUS0_SCIUI1_SPO0_SRVW0_SSO0_SVW1_SNLL0_TSGRA0_TSGRB0_TT2_64_TLDS1_UMLDSA1_UMLDSB1_USFGROn1_VAW1_VSn1_VW1_VWB1_VFLRP0_WSGRA0_WSGRB0_WG64_4_1_WGM8_preloaded: // Kernel start when preloading

/* Load Kernel Args */
_s_load_b512 s[8:23], s[sgprKernArgAddress:sgprKernArgAddress+1], 0x0 // 
_s_load_b256 s[24:31], s[sgprKernArgAddress:sgprKernArgAddress+1], 0x40 // 
_s_load_b128 s[32:35], s[sgprKernArgAddress:sgprKernArgAddress+1], 0x60 // 
_s_load_b64 s[36:37], s[sgprKernArgAddress:sgprKernArgAddress+1], 0x70 // 
_s_load_b32 s38, s[sgprKernArgAddress:sgprKernArgAddress+1], 0x78 // 
s_mov_b32 m0, 0x4200                               // LDS clamp at 16896 bytes
v_mov_b32 v[vgprSerial], v0                        // thread serial id

/******************************************/
/* Local Read Addresses                   */
/******************************************/


/* local read addresses: tile assignments a/b */

/*lr0I*/
v_and_b32 v1, 63, v[vgprSerial]                    // 0. thread id in wave: wtid = tid % wavelength(64)
v_and_b32 v0, 31, v1                               // 1. N offset: nIdx = wtid % MI_N(32)
v_lshlrev_b32 v0, 0x4, v0                          // 1. N offset: nOffset = nIdx * nStride(16)
                                                   // 2. block offset: bnIdx = bnIdx % num1DBlocks(1) is 0. do nothing
                                                   // 4. apply VectorWidth: bnOffset = bnOffset * vw(1) (multiplier is 1, do nothing)
v_lshrrev_b32 v1, 5, v1                            // 5. K offset: kIdx = wtid / (MIN(32) * MIBB(1))
                                                   // 5. K offset: lrKOffset = kIdx * mStride(1) (multiplier is 1, do nothing)
_v_add_u32 v0, v1, v0                              // 6. offset in wave: lrOffset = bnOffset + lrKOffset
v_lshrrev_b32 v2, 6, v[vgprSerial]                 // 7. wave offset in N dimen: wtid = tid / dividedForWaveId(64)
v_and_b32 v1, 1, v2                                // 7. wave offset in M dimen: wtid0 = wtid / num1DWaves(2)
v_lshlrev_b32 v1, 0x9, v1                          // 7. wave offset in M dimen: wOffset = wtid0 * W0Stride(512)
_v_add_u32 v0, v1, v0                              // 8. final local read offset: flrOffset = lrOffset + WOffset
/*lr1J*/
v_and_b32 v2, 63, v[vgprSerial]                    // 0. thread id in wave: wtid = tid % wavelength(64)
v_and_b32 v1, 31, v2                               // 1. N offset: nIdx = wtid % MI_N(32)
v_lshlrev_b32 v1, 0x4, v1                          // 1. N offset: nOffset = nIdx * nStride(16)
                                                   // 2. block offset: bnIdx = bnIdx % num1DBlocks(1) is 0. do nothing
                                                   // 4. apply VectorWidth: bnOffset = bnOffset * vw(1) (multiplier is 1, do nothing)
v_lshrrev_b32 v2, 5, v2                            // 5. K offset: kIdx = wtid / (MIN(32) * MIBB(1))
                                                   // 5. K offset: lrKOffset = kIdx * mStride(1) (multiplier is 1, do nothing)
_v_add_u32 v1, v2, v1                              // 6. offset in wave: lrOffset = bnOffset + lrKOffset
v_lshrrev_b32 v3, 7, v[vgprSerial]                 // 7. wave offset in N dimen: wtid = tid / dividedForWaveId(128)
v_and_b32 v2, 1, v3                                // 7. wave offset in M dimen: wtid0 = wtid / num1DWaves(2)
v_lshlrev_b32 v2, 0x9, v2                          // 7. wave offset in M dimen: wOffset = wtid0 * W0Stride(512)
_v_add_u32 v1, v2, v1                              // 8. final local read offset: flrOffset = lrOffset + WOffset


/* local read addresses: final offsets a */

v_lshlrev_b32 v[vgprLocalReadAddrA], 0x2, v0       // Final Offset: offset = (lro0)*bpe
v_lshrrev_b32 v0, 7, v[vgprLocalReadAddrA]         // Final Offset: padding 1 per block 128
v_lshlrev_b32 v0, 0x2, v0                          // Final Offset: padding 1 per block 128
_v_add_u32 v[vgprLocalReadAddrA], v0, v[vgprLocalReadAddrA] // Final Offset: add padding 1 per block 128


/* local read addresses: final offsets b */

v_lshlrev_b32 v[vgprLocalReadAddrB], 0x2, v1       // Final Offset: offset = (lro1)*bpe
v_lshrrev_b32 v0, 7, v[vgprLocalReadAddrB]         // Final Offset: padding 1 per block 128
v_lshlrev_b32 v0, 0x2, v0                          // Final Offset: padding 1 per block 128
_v_add_u32 v[vgprLocalReadAddrB], v0, v[vgprLocalReadAddrB] // Final Offset: add padding 1 per block 128


/* local read addresses: declare addresses a */

/* N/A */


/* local read addresses: declare addresses b */

_v_add_co_u32 v[vgprLocalReadAddrB+0], vcc, 0x2100, v[vgprLocalReadAddrB+0] //  += LdsOffsetB (lower)
s_waitcnt lgkmcnt(0)                               // wait for 124 bytes of kern args


/* Short circuit condition if Alpha == 0, then sumDims=0 */
v_cmp_eq_f32 vcc, s[sgprAlpha], 0.0                // Alpha == 0.0f ?
s_cbranch_vccz label_AlphaNonZero                  // branch if alpha != 0
s_mov_b32 s[sgprSizesSum+0], 0x0                   // Set summation dim=0 if Alpha == 0
label_AlphaNonZero:


	;; [unrolled: 1-line block ×3, first 2 shown]
/******************************************/
/* Begin setupNewTile, isPap=False           */
/******************************************/


/* global read addresses: work-group */

/* graWorkGroup mapping */
s_mov_b32 s43, 0x10000001L                         // magic number for WGM==8
s_mul_hi_u32 s41, s[sgprWorkGroup1], s43           // s_magic mul
s_mul_i32 s40, s[sgprWorkGroup1], s43              // s_magic mul
s_lshr_b64 s[40:41], s[40:41], 31                  // sMagicDiv
s_mul_i32 s41, s40, 8                              // quotient * non-magic divisor
s_sub_u32 s41, s[sgprWorkGroup1], s41              // WorkGroup1=remainder
s_mul_i32 s41, s41, s[sgprNumWorkGroups0]          // (wg1 % WGM)*nwg0
s_add_u32 s41, s41, s[sgprWorkGroup0]              // wgSerial = wg0 + (wg1 % WGM)*nwg1
s_cmp_ge_u32 s40, s[sgprNumFullBlocks]             // blockId >= numFullBlocks ?
s_cmov_b32 s43, s[sgprMagicNumberWgmRemainder1]    // 
s_cselect_b32 s42, s[sgprWgmRemainder1], 8         // 
s_mul_hi_u32 s3, s41, s43                          // s_magic mul
s_mul_i32 s2, s41, s43                             // s_magic mul
s_lshr_b64 s[2:3], s[2:3], 31                      // sMagicDiv
s_mul_i32 s[sgprWorkGroup1], s[sgprWorkGroup0], s42 // quotient * non-magic divisor
s_sub_u32 s[sgprWorkGroup1], s41, s[sgprWorkGroup1] // WorkGroup1=remainder
s_mul_i32 s40, s40, 8                              // blockId * WGM
s_add_u32 s[sgprWorkGroup1], s[sgprWorkGroup1], s40 // wg1 += blockId * WGM


/* global read addresses: tile offset assignment a */

/* LVCA = 16 */
/* v2 = groA-tile = serial/LVCA + (wgA*MTA) */
/* v1 = groA-unroll = serial%LVCA */
v_lshrrev_b32 v0, 4, v[vgprSerial]                 // v0 = v[vgprSerial] / 16
v_and_b32 v1, 15, v[vgprSerial]                    // v1 = v[vgprSerial] % 16
/* gro-unroll *= glvw */
                                                   // v1 = v1 * 1 (multiplier is 1, do nothing)
v_lshlrev_b32 v3, 0x7, s[sgprWorkGroup0]           // v3 = s[sgprWorkGroup0] * 128
_v_add_co_u32 v2, vcc, v3, v0                      // groA-tile = serial/LVCA*VW + (wgA*MTA)


/* global read addresses: tile offset assignment b */

/* LVCB = 16 */
/* v5 = groB-tile = serial/LVCB + (wgB*MTB) */
/* v4 = groB-unroll = serial%LVCB */
v_lshrrev_b32 v3, 4, v[vgprSerial]                 // v3 = v[vgprSerial] / 16
v_and_b32 v4, 15, v[vgprSerial]                    // v4 = v[vgprSerial] % 16
/* gro-unroll *= glvw */
                                                   // v4 = v4 * 1 (multiplier is 1, do nothing)
v_lshlrev_b32 v6, 0x7, s[sgprWorkGroup1]           // v6 = s[sgprWorkGroup1] * 128
_v_add_co_u32 v5, vcc, v6, v3                      // groB-tile = serial/LVCB*VW + (wgB*MTB)


/* global read addresses: unroll assignment a */

/* v1 */


/* global read addresses: unroll assignment b */

/* v4 */


/* global read addresses: other free assignments */

/* s[sgprWorkGroup2] */


/* global read addresses: tile offsets a */

v_mov_b32 v6, v2                                   // groA0I_0
_v_add_co_u32 v7, vcc, 16, v6                      // groA0I_1 += LSPA
_v_add_co_u32 v8, vcc, 16, v7                      // groA0I_2 += LSPA
_v_add_co_u32 v9, vcc, 16, v8                      // groA0I_3 += LSPA
_v_add_co_u32 v10, vcc, 16, v9                     // groA0I_4 += LSPA
_v_add_co_u32 v11, vcc, 16, v10                    // groA0I_5 += LSPA
_v_add_co_u32 v12, vcc, 16, v11                    // groA0I_6 += LSPA
_v_add_co_u32 v13, vcc, 16, v12                    // groA0I_7 += LSPA


/* global read addresses: tile offsets b */

v_mov_b32 v14, v5                                  // groB1J_0
_v_add_co_u32 v15, vcc, 16, v14                    // groB1J_1 += LSPB
_v_add_co_u32 v16, vcc, 16, v15                    // groB1J_2 += LSPB
_v_add_co_u32 v17, vcc, 16, v16                    // groB1J_3 += LSPB
_v_add_co_u32 v18, vcc, 16, v17                    // groB1J_4 += LSPB
_v_add_co_u32 v19, vcc, 16, v18                    // groB1J_5 += LSPB
_v_add_co_u32 v20, vcc, 16, v19                    // groB1J_6 += LSPB
_v_add_co_u32 v21, vcc, 16, v20                    // groB1J_7 += LSPB


/* global read addresses: unroll offsets a */

v_mov_b32 v2, v1                                   // groAL_0


/* global read addresses: unroll offsets b */

v_mov_b32 v5, v4                                   // groBL_0


/* global read addresses: shift a */

s_sub_u32 s0, s[sgprSizeI], 1                      // edge = Size0I-1
v_mov_b32 v22, s0                                  // edge vgpr = Size0I-1
v_cmp_lt_u32 s[0:1], v6, v22                       // shiftedOffset < shiftedEdge
v_cndmask_b32 v6, v22, v6, s[0:1]                  // offset = (offset < edge) ? offset(v6) : edge(v22)
v_cmp_lt_u32 s[0:1], v7, v22                       // shiftedOffset < shiftedEdge
v_cndmask_b32 v7, v22, v7, s[0:1]                  // offset = (offset < edge) ? offset(v7) : edge(v22)
	;; [unrolled: 2-line block ×4, first 2 shown]
v_cmp_lt_u32 s[0:1], v10, v22                      // shiftedOffset < shiftedEdge
v_cndmask_b32 v10, v22, v10, s[0:1]                // offset = (offset < edge) ? offset(v10) : edge(v22)
v_cmp_lt_u32 s[0:1], v11, v22                      // shiftedOffset < shiftedEdge
v_cndmask_b32 v11, v22, v11, s[0:1]                // offset = (offset < edge) ? offset(v11) : edge(v22)
	;; [unrolled: 2-line block ×4, first 2 shown]


/* global read addresses: shift b */

s_sub_u32 s0, s[sgprSizeJ], 1                      // edge = Size1J-1
v_mov_b32 v22, s0                                  // edge vgpr = Size1J-1
v_cmp_lt_u32 s[0:1], v14, v22                      // shiftedOffset < shiftedEdge
v_cndmask_b32 v14, v22, v14, s[0:1]                // offset = (offset < edge) ? offset(v14) : edge(v22)
v_cmp_lt_u32 s[0:1], v15, v22                      // shiftedOffset < shiftedEdge
v_cndmask_b32 v15, v22, v15, s[0:1]                // offset = (offset < edge) ? offset(v15) : edge(v22)
	;; [unrolled: 2-line block ×8, first 2 shown]


/* global read addresses: final offsets a */

GLOBAL_OFFSET_A vgprGlobalReadAddrA+0,  2,  6, sgprWorkGroup2, 22 // gROA_0_0_0_0
GLOBAL_OFFSET_A vgprGlobalReadAddrA+2,  2,  7, sgprWorkGroup2, 22 // gROA_0_0_1_0
GLOBAL_OFFSET_A vgprGlobalReadAddrA+4,  2,  8, sgprWorkGroup2, 22 // gROA_0_0_2_0
GLOBAL_OFFSET_A vgprGlobalReadAddrA+6,  2,  9, sgprWorkGroup2, 22 // gROA_0_0_3_0
GLOBAL_OFFSET_A vgprGlobalReadAddrA+8,  2, 10, sgprWorkGroup2, 22 // gROA_0_0_4_0
GLOBAL_OFFSET_A vgprGlobalReadAddrA+10,  2, 11, sgprWorkGroup2, 22 // gROA_0_0_5_0
GLOBAL_OFFSET_A vgprGlobalReadAddrA+12,  2, 12, sgprWorkGroup2, 22 // gROA_0_0_6_0
GLOBAL_OFFSET_A vgprGlobalReadAddrA+14,  2, 13, sgprWorkGroup2, 22 // gROA_0_0_7_0


/* global read addresses: final offsets b */

GLOBAL_OFFSET_B vgprGlobalReadAddrB+0,  5, 14, sgprWorkGroup2, 6 // gROB_0_0_0_0
GLOBAL_OFFSET_B vgprGlobalReadAddrB+2,  5, 15, sgprWorkGroup2, 6 // gROB_0_0_1_0
GLOBAL_OFFSET_B vgprGlobalReadAddrB+4,  5, 16, sgprWorkGroup2, 6 // gROB_0_0_2_0
GLOBAL_OFFSET_B vgprGlobalReadAddrB+6,  5, 17, sgprWorkGroup2, 6 // gROB_0_0_3_0
GLOBAL_OFFSET_B vgprGlobalReadAddrB+8,  5, 18, sgprWorkGroup2, 6 // gROB_0_0_4_0
GLOBAL_OFFSET_B vgprGlobalReadAddrB+10,  5, 19, sgprWorkGroup2, 6 // gROB_0_0_5_0
GLOBAL_OFFSET_B vgprGlobalReadAddrB+12,  5, 20, sgprWorkGroup2, 6 // gROB_0_0_6_0
GLOBAL_OFFSET_B vgprGlobalReadAddrB+14,  5, 21, sgprWorkGroup2, 6 // gROB_0_0_7_0


/* global read addresses: addresses a */

v_mov_b32 v5, s[sgprAddressA+0]                    // 
v_mov_b32 v6, s[sgprAddressA+1]                    // 
_v_add_co_u32 v[vgprGlobalReadAddrA+0+0], vcc, v[vgprGlobalReadAddrA+0+0], v5 // gRAA_0_0_0_0 = addrA+grOA_0_0_0_0 (lower)
_v_addc_co_u32 v[vgprGlobalReadAddrA+0+1], vcc, v[vgprGlobalReadAddrA+0+1], v6, vcc // gRAA_0_0_0_0 = addrA+grOA_0_0_0_0 (upper)
_v_add_co_u32 v[vgprGlobalReadAddrA+2+0], vcc, v[vgprGlobalReadAddrA+2+0], v5 // gRAA_0_0_1_0 = addrA+grOA_0_0_1_0 (lower)
_v_addc_co_u32 v[vgprGlobalReadAddrA+2+1], vcc, v[vgprGlobalReadAddrA+2+1], v6, vcc // gRAA_0_0_1_0 = addrA+grOA_0_0_1_0 (upper)
_v_add_co_u32 v[vgprGlobalReadAddrA+4+0], vcc, v[vgprGlobalReadAddrA+4+0], v5 // gRAA_0_0_2_0 = addrA+grOA_0_0_2_0 (lower)
_v_addc_co_u32 v[vgprGlobalReadAddrA+4+1], vcc, v[vgprGlobalReadAddrA+4+1], v6, vcc // gRAA_0_0_2_0 = addrA+grOA_0_0_2_0 (upper)
_v_add_co_u32 v[vgprGlobalReadAddrA+6+0], vcc, v[vgprGlobalReadAddrA+6+0], v5 // gRAA_0_0_3_0 = addrA+grOA_0_0_3_0 (lower)
_v_addc_co_u32 v[vgprGlobalReadAddrA+6+1], vcc, v[vgprGlobalReadAddrA+6+1], v6, vcc // gRAA_0_0_3_0 = addrA+grOA_0_0_3_0 (upper)
_v_add_co_u32 v[vgprGlobalReadAddrA+8+0], vcc, v[vgprGlobalReadAddrA+8+0], v5 // gRAA_0_0_4_0 = addrA+grOA_0_0_4_0 (lower)
_v_addc_co_u32 v[vgprGlobalReadAddrA+8+1], vcc, v[vgprGlobalReadAddrA+8+1], v6, vcc // gRAA_0_0_4_0 = addrA+grOA_0_0_4_0 (upper)
_v_add_co_u32 v[vgprGlobalReadAddrA+10+0], vcc, v[vgprGlobalReadAddrA+10+0], v5 // gRAA_0_0_5_0 = addrA+grOA_0_0_5_0 (lower)
_v_addc_co_u32 v[vgprGlobalReadAddrA+10+1], vcc, v[vgprGlobalReadAddrA+10+1], v6, vcc // gRAA_0_0_5_0 = addrA+grOA_0_0_5_0 (upper)
_v_add_co_u32 v[vgprGlobalReadAddrA+12+0], vcc, v[vgprGlobalReadAddrA+12+0], v5 // gRAA_0_0_6_0 = addrA+grOA_0_0_6_0 (lower)
_v_addc_co_u32 v[vgprGlobalReadAddrA+12+1], vcc, v[vgprGlobalReadAddrA+12+1], v6, vcc // gRAA_0_0_6_0 = addrA+grOA_0_0_6_0 (upper)
_v_add_co_u32 v[vgprGlobalReadAddrA+14+0], vcc, v[vgprGlobalReadAddrA+14+0], v5 // gRAA_0_0_7_0 = addrA+grOA_0_0_7_0 (lower)
_v_addc_co_u32 v[vgprGlobalReadAddrA+14+1], vcc, v[vgprGlobalReadAddrA+14+1], v6, vcc // gRAA_0_0_7_0 = addrA+grOA_0_0_7_0 (upper)


/* global read addresses: addresses b */

v_mov_b32 v5, s[sgprAddressB+0]                    // 
v_mov_b32 v6, s[sgprAddressB+1]                    // 
_v_add_co_u32 v[vgprGlobalReadAddrB+0+0], vcc, v[vgprGlobalReadAddrB+0+0], v5 // gRAB_0_0_0_0 = addrB+grOB_0_0_0_0 (lower)
_v_addc_co_u32 v[vgprGlobalReadAddrB+0+1], vcc, v[vgprGlobalReadAddrB+0+1], v6, vcc // gRAB_0_0_0_0 = addrB+grOB_0_0_0_0 (upper)
_v_add_co_u32 v[vgprGlobalReadAddrB+2+0], vcc, v[vgprGlobalReadAddrB+2+0], v5 // gRAB_0_0_1_0 = addrB+grOB_0_0_1_0 (lower)
_v_addc_co_u32 v[vgprGlobalReadAddrB+2+1], vcc, v[vgprGlobalReadAddrB+2+1], v6, vcc // gRAB_0_0_1_0 = addrB+grOB_0_0_1_0 (upper)
_v_add_co_u32 v[vgprGlobalReadAddrB+4+0], vcc, v[vgprGlobalReadAddrB+4+0], v5 // gRAB_0_0_2_0 = addrB+grOB_0_0_2_0 (lower)
_v_addc_co_u32 v[vgprGlobalReadAddrB+4+1], vcc, v[vgprGlobalReadAddrB+4+1], v6, vcc // gRAB_0_0_2_0 = addrB+grOB_0_0_2_0 (upper)
_v_add_co_u32 v[vgprGlobalReadAddrB+6+0], vcc, v[vgprGlobalReadAddrB+6+0], v5 // gRAB_0_0_3_0 = addrB+grOB_0_0_3_0 (lower)
_v_addc_co_u32 v[vgprGlobalReadAddrB+6+1], vcc, v[vgprGlobalReadAddrB+6+1], v6, vcc // gRAB_0_0_3_0 = addrB+grOB_0_0_3_0 (upper)
_v_add_co_u32 v[vgprGlobalReadAddrB+8+0], vcc, v[vgprGlobalReadAddrB+8+0], v5 // gRAB_0_0_4_0 = addrB+grOB_0_0_4_0 (lower)
_v_addc_co_u32 v[vgprGlobalReadAddrB+8+1], vcc, v[vgprGlobalReadAddrB+8+1], v6, vcc // gRAB_0_0_4_0 = addrB+grOB_0_0_4_0 (upper)
_v_add_co_u32 v[vgprGlobalReadAddrB+10+0], vcc, v[vgprGlobalReadAddrB+10+0], v5 // gRAB_0_0_5_0 = addrB+grOB_0_0_5_0 (lower)
_v_addc_co_u32 v[vgprGlobalReadAddrB+10+1], vcc, v[vgprGlobalReadAddrB+10+1], v6, vcc // gRAB_0_0_5_0 = addrB+grOB_0_0_5_0 (upper)
_v_add_co_u32 v[vgprGlobalReadAddrB+12+0], vcc, v[vgprGlobalReadAddrB+12+0], v5 // gRAB_0_0_6_0 = addrB+grOB_0_0_6_0 (lower)
_v_addc_co_u32 v[vgprGlobalReadAddrB+12+1], vcc, v[vgprGlobalReadAddrB+12+1], v6, vcc // gRAB_0_0_6_0 = addrB+grOB_0_0_6_0 (upper)
_v_add_co_u32 v[vgprGlobalReadAddrB+14+0], vcc, v[vgprGlobalReadAddrB+14+0], v5 // gRAB_0_0_7_0 = addrB+grOB_0_0_7_0 (lower)
_v_addc_co_u32 v[vgprGlobalReadAddrB+14+1], vcc, v[vgprGlobalReadAddrB+14+1], v6, vcc // gRAB_0_0_7_0 = addrB+grOB_0_0_7_0 (upper)


/* global read addresses: increments a */

s_mul_i32 s0, DepthU*4, constStrideAL              // incrAL = constStrideAL*DepthU*bpe (unrollIdx)
s_mov_b32 s1, 0x0                                  // (carry)
v_mov_b32 v[vgprGlobalReadIncsA+0+0], s0           // 
v_mov_b32 v[vgprGlobalReadIncsA+0+1], s1           // 


/* global read addresses: increments b */

s_mul_i32 s0, DepthU*4, constStrideBL              // incrBL = constStrideBL*DepthU*bpe (unrollIdx)
s_mov_b32 s1, 0x0                                  // (carry)
v_mov_b32 v[vgprGlobalReadIncsB+0+0], s0           // 
v_mov_b32 v[vgprGlobalReadIncsB+0+1], s1           // 


/******************************************/
/* Local Write Addresses                  */
/******************************************/

/* lwaTileAssignmentA = v0 */

/* lwaTileAssignmentB = v3 */

/* lwaUnrollAssignmentA = v1 */

/* lwaUnrollAssignmentB = v4 */


/* local write addresses: first offset a */

v_mul_u32_u24 v[vgprLocalWriteAddrA], 0x10, v0     // lwAL**(DepthU_Compute + PAD)
_v_add_lshl_u32 v[vgprLocalWriteAddrA], v1, v[vgprLocalWriteAddrA], 0x2 // lwFOA = (lwAA + lwAL*(DepthU+PAD))*bpe
v_lshrrev_b32 v1, 7, v[vgprLocalWriteAddrA]        // padding 1 per block 128
v_lshlrev_b32 v1, 0x2, v1                          // padding 1 per block 128
_v_add_u32 v[vgprLocalWriteAddrA], v1, v[vgprLocalWriteAddrA] // add padding 1 per block 128


/* local write addresses: first offset b */

v_mul_u32_u24 v[vgprLocalWriteAddrB], 0x10, v3     // lwBL**(DepthU_Compute + PAD)
_v_add_lshl_u32 v[vgprLocalWriteAddrB], v4, v[vgprLocalWriteAddrB], 0x2 // lwFOB = (lwBB + lwBL*(DepthU+PAD))*bpe
v_lshrrev_b32 v4, 7, v[vgprLocalWriteAddrB]        // padding 1 per block 128
v_lshlrev_b32 v4, 0x2, v4                          // padding 1 per block 128
_v_add_u32 v[vgprLocalWriteAddrB], v4, v[vgprLocalWriteAddrB] // add padding 1 per block 128
_v_add_co_u32 v[vgprLocalWriteAddrB], vcc, 0x2100, v[vgprLocalWriteAddrB] // lwFOB = lwB1J + lwBL*MT1J + LDS_OFFSET_B=2112*4


	;; [unrolled: 1-line block ×7, first 2 shown]
/* declare loop num iterations */


s_lshr_b32 s[sgprLoopCounterL], s[sgprSizesSum+0], 4 // s[sgprLoopCounterL] = s[sgprSizesSum+0] / 16
s_mov_b32 s[sgprOrigLoopCounter], s[sgprLoopCounterL] // copy loop counter

/* local read addresses: init pointers a */


/* localReadInitPointers */

/* local read addresses: init pointers b */


/* localReadInitPointers */


/* prefetch: global -> local */

s_cmp_eq_u32 s[sgprLoopCounterL], 0                // at last iteration?
s_cbranch_scc1 ShadowInitStart_10                  // skip to ShadowInitStart iter b/c numIter==0


_global_load_b32 v[vgprG2LA+0], v[vgprGlobalReadAddrA+0:vgprGlobalReadAddrA+0+1], off, offset:0 // G -> Reg 0_0_0_0
_global_load_b32 v[vgprG2LA+1], v[vgprGlobalReadAddrA+2:vgprGlobalReadAddrA+2+1], off, offset:0 // G -> Reg 0_0_1_0
_global_load_b32 v[vgprG2LA+2], v[vgprGlobalReadAddrA+4:vgprGlobalReadAddrA+4+1], off, offset:0 // G -> Reg 0_0_2_0
_global_load_b32 v[vgprG2LA+3], v[vgprGlobalReadAddrA+6:vgprGlobalReadAddrA+6+1], off, offset:0 // G -> Reg 0_0_3_0
_global_load_b32 v[vgprG2LA+4], v[vgprGlobalReadAddrA+8:vgprGlobalReadAddrA+8+1], off, offset:0 // G -> Reg 0_0_4_0
_global_load_b32 v[vgprG2LA+5], v[vgprGlobalReadAddrA+10:vgprGlobalReadAddrA+10+1], off, offset:0 // G -> Reg 0_0_5_0
_global_load_b32 v[vgprG2LA+6], v[vgprGlobalReadAddrA+12:vgprGlobalReadAddrA+12+1], off, offset:0 // G -> Reg 0_0_6_0
_global_load_b32 v[vgprG2LA+7], v[vgprGlobalReadAddrA+14:vgprGlobalReadAddrA+14+1], off, offset:0 // G -> Reg 0_0_7_0


_global_load_b32 v[vgprG2LB+0], v[vgprGlobalReadAddrB+0:vgprGlobalReadAddrB+0+1], off, offset:0 // G -> Reg 0_0_0_0
_global_load_b32 v[vgprG2LB+1], v[vgprGlobalReadAddrB+2:vgprGlobalReadAddrB+2+1], off, offset:0 // G -> Reg 0_0_1_0
_global_load_b32 v[vgprG2LB+2], v[vgprGlobalReadAddrB+4:vgprGlobalReadAddrB+4+1], off, offset:0 // G -> Reg 0_0_2_0
_global_load_b32 v[vgprG2LB+3], v[vgprGlobalReadAddrB+6:vgprGlobalReadAddrB+6+1], off, offset:0 // G -> Reg 0_0_3_0
_global_load_b32 v[vgprG2LB+4], v[vgprGlobalReadAddrB+8:vgprGlobalReadAddrB+8+1], off, offset:0 // G -> Reg 0_0_4_0
_global_load_b32 v[vgprG2LB+5], v[vgprGlobalReadAddrB+10:vgprGlobalReadAddrB+10+1], off, offset:0 // G -> Reg 0_0_5_0
_global_load_b32 v[vgprG2LB+6], v[vgprGlobalReadAddrB+12:vgprGlobalReadAddrB+12+1], off, offset:0 // G -> Reg 0_0_6_0
_global_load_b32 v[vgprG2LB+7], v[vgprGlobalReadAddrB+14:vgprGlobalReadAddrB+14+1], off, offset:0 // G -> Reg 0_0_7_0


/* global read inc A loopL */
_v_add_co_u32  v[vgprGlobalReadAddrA+0+0], vcc, v[vgprGlobalReadAddrA+0+0], v[vgprGlobalReadIncsA+0+0] // gra += incAL (lower)
_v_addc_co_u32 v[vgprGlobalReadAddrA+0+1], vcc, v[vgprGlobalReadAddrA+0+1], v[vgprGlobalReadIncsA+0+1], vcc // gra += incAL (upper)
_v_add_co_u32  v[vgprGlobalReadAddrA+2+0], vcc, v[vgprGlobalReadAddrA+2+0], v[vgprGlobalReadIncsA+0+0] // gra += incAL (lower)
_v_addc_co_u32 v[vgprGlobalReadAddrA+2+1], vcc, v[vgprGlobalReadAddrA+2+1], v[vgprGlobalReadIncsA+0+1], vcc // gra += incAL (upper)
	;; [unrolled: 2-line block ×8, first 2 shown]

/* global read inc B loopL */
_v_add_co_u32  v[vgprGlobalReadAddrB+0+0], vcc, v[vgprGlobalReadAddrB+0+0], v[vgprGlobalReadIncsB+0+0] // gra += incBL (lower)
_v_addc_co_u32 v[vgprGlobalReadAddrB+0+1], vcc, v[vgprGlobalReadAddrB+0+1], v[vgprGlobalReadIncsB+0+1], vcc // gra += incBL (upper)
_v_add_co_u32  v[vgprGlobalReadAddrB+2+0], vcc, v[vgprGlobalReadAddrB+2+0], v[vgprGlobalReadIncsB+0+0] // gra += incBL (lower)
_v_addc_co_u32 v[vgprGlobalReadAddrB+2+1], vcc, v[vgprGlobalReadAddrB+2+1], v[vgprGlobalReadIncsB+0+1], vcc // gra += incBL (upper)
	;; [unrolled: 2-line block ×8, first 2 shown]


/******************************************/
/* End setupNewTile, isPap=False             */
/******************************************/

ShadowInitStart_10: // 


	;; [unrolled: 1-line block ×3, first 2 shown]
/* initC: remove C-tile 0-0 from pool */

/* initC: remove AB-tile 0-32 from pool */
v_accvgpr_write acc0, 0x0                          // initC
v_accvgpr_write acc1, 0x0                          // initC
v_accvgpr_write acc2, 0x0                          // initC
v_accvgpr_write acc3, 0x0                          // initC
v_accvgpr_write acc4, 0x0                          // initC
v_accvgpr_write acc5, 0x0                          // initC
v_accvgpr_write acc6, 0x0                          // initC
v_accvgpr_write acc7, 0x0                          // initC
v_accvgpr_write acc8, 0x0                          // initC
v_accvgpr_write acc9, 0x0                          // initC
v_accvgpr_write acc10, 0x0                         // initC
v_accvgpr_write acc11, 0x0                         // initC
v_accvgpr_write acc12, 0x0                         // initC
v_accvgpr_write acc13, 0x0                         // initC
v_accvgpr_write acc14, 0x0                         // initC
v_accvgpr_write acc15, 0x0                         // initC
v_accvgpr_write acc16, 0x0                         // initC
v_accvgpr_write acc17, 0x0                         // initC
v_accvgpr_write acc18, 0x0                         // initC
v_accvgpr_write acc19, 0x0                         // initC
v_accvgpr_write acc20, 0x0                         // initC
v_accvgpr_write acc21, 0x0                         // initC
v_accvgpr_write acc22, 0x0                         // initC
v_accvgpr_write acc23, 0x0                         // initC
v_accvgpr_write acc24, 0x0                         // initC
v_accvgpr_write acc25, 0x0                         // initC
v_accvgpr_write acc26, 0x0                         // initC
v_accvgpr_write acc27, 0x0                         // initC
v_accvgpr_write acc28, 0x0                         // initC
v_accvgpr_write acc29, 0x0                         // initC
v_accvgpr_write acc30, 0x0                         // initC
v_accvgpr_write acc31, 0x0                         // initC
v_accvgpr_write acc32, 0x0                         // initC
v_accvgpr_write acc33, 0x0                         // initC
v_accvgpr_write acc34, 0x0                         // initC
v_accvgpr_write acc35, 0x0                         // initC
v_accvgpr_write acc36, 0x0                         // initC
v_accvgpr_write acc37, 0x0                         // initC
v_accvgpr_write acc38, 0x0                         // initC
v_accvgpr_write acc39, 0x0                         // initC
v_accvgpr_write acc40, 0x0                         // initC
v_accvgpr_write acc41, 0x0                         // initC
v_accvgpr_write acc42, 0x0                         // initC
v_accvgpr_write acc43, 0x0                         // initC
v_accvgpr_write acc44, 0x0                         // initC
v_accvgpr_write acc45, 0x0                         // initC
v_accvgpr_write acc46, 0x0                         // initC
v_accvgpr_write acc47, 0x0                         // initC
v_accvgpr_write acc48, 0x0                         // initC
v_accvgpr_write acc49, 0x0                         // initC
v_accvgpr_write acc50, 0x0                         // initC
v_accvgpr_write acc51, 0x0                         // initC
v_accvgpr_write acc52, 0x0                         // initC
v_accvgpr_write acc53, 0x0                         // initC
v_accvgpr_write acc54, 0x0                         // initC
v_accvgpr_write acc55, 0x0                         // initC
v_accvgpr_write acc56, 0x0                         // initC
v_accvgpr_write acc57, 0x0                         // initC
v_accvgpr_write acc58, 0x0                         // initC
v_accvgpr_write acc59, 0x0                         // initC
v_accvgpr_write acc60, 0x0                         // initC
v_accvgpr_write acc61, 0x0                         // initC
v_accvgpr_write acc62, 0x0                         // initC
v_accvgpr_write acc63, 0x0                         // initC

s_cmp_eq_u32 s[sgprLoopCounterL], 0                // at last iteration?

/* after InitC, skip to end of prefetch last iter if numIter==0 */
s_cbranch_scc0 label_NoBranch_11                   // Only branch on scc1
s_getpc_B64 s[40:41]                               // addr of next instr
s_add_i32 s42, PrefetchGlobalLastIterEnd_5, 0x4    // target branch offset
s_add_u32 s40, s40, s42                            // add target branch offset
s_addc_u32 s41, s41, 0                             // add high and carry
s_setpc_b64 s[40:41]                               // branch to PrefetchGlobalLastIterEnd_5
label_NoBranch_11:

s_waitcnt vmcnt(0)                                 // lgkmcnt=-1 vmcnt=0 8wait for global read


/* local write a */
_ds_store_b32 v[vgprLocalWriteAddrA], v[vgprG2LA+0] offset:0 // lwoA_0_0_0_0 = (0*LSCA)*(MT0I+PAD) + (0*LSPA) = 0
_ds_store_b32 v[vgprLocalWriteAddrA], v[vgprG2LA+1] offset:1056 // lwoA_0_0_1_0 = (0*LSCA)*(MT0I+PAD) + (1*LSPA) = 1056
_ds_store_b32 v[vgprLocalWriteAddrA], v[vgprG2LA+2] offset:2112 // lwoA_0_0_2_0 = (0*LSCA)*(MT0I+PAD) + (2*LSPA) = 2112
_ds_store_b32 v[vgprLocalWriteAddrA], v[vgprG2LA+3] offset:3168 // lwoA_0_0_3_0 = (0*LSCA)*(MT0I+PAD) + (3*LSPA) = 3168
_ds_store_b32 v[vgprLocalWriteAddrA], v[vgprG2LA+4] offset:4224 // lwoA_0_0_4_0 = (0*LSCA)*(MT0I+PAD) + (4*LSPA) = 4224
_ds_store_b32 v[vgprLocalWriteAddrA], v[vgprG2LA+5] offset:5280 // lwoA_0_0_5_0 = (0*LSCA)*(MT0I+PAD) + (5*LSPA) = 5280
_ds_store_b32 v[vgprLocalWriteAddrA], v[vgprG2LA+6] offset:6336 // lwoA_0_0_6_0 = (0*LSCA)*(MT0I+PAD) + (6*LSPA) = 6336
_ds_store_b32 v[vgprLocalWriteAddrA], v[vgprG2LA+7] offset:7392 // lwoA_0_0_7_0 = (0*LSCA)*(MT0I+PAD) + (7*LSPA) = 7392

/* local write b */
_ds_store_b32 v[vgprLocalWriteAddrB], v[vgprG2LB+0] offset:0 // lwoB_0_0_0_0 = (0*LSCB)*(MT1J+PAD) + (0*LSPB) = 0
_ds_store_b32 v[vgprLocalWriteAddrB], v[vgprG2LB+1] offset:1056 // lwoB_0_0_1_0 = (0*LSCB)*(MT1J+PAD) + (1*LSPB) = 1056
_ds_store_b32 v[vgprLocalWriteAddrB], v[vgprG2LB+2] offset:2112 // lwoB_0_0_2_0 = (0*LSCB)*(MT1J+PAD) + (2*LSPB) = 2112
_ds_store_b32 v[vgprLocalWriteAddrB], v[vgprG2LB+3] offset:3168 // lwoB_0_0_3_0 = (0*LSCB)*(MT1J+PAD) + (3*LSPB) = 3168
_ds_store_b32 v[vgprLocalWriteAddrB], v[vgprG2LB+4] offset:4224 // lwoB_0_0_4_0 = (0*LSCB)*(MT1J+PAD) + (4*LSPB) = 4224
_ds_store_b32 v[vgprLocalWriteAddrB], v[vgprG2LB+5] offset:5280 // lwoB_0_0_5_0 = (0*LSCB)*(MT1J+PAD) + (5*LSPB) = 5280
_ds_store_b32 v[vgprLocalWriteAddrB], v[vgprG2LB+6] offset:6336 // lwoB_0_0_6_0 = (0*LSCB)*(MT1J+PAD) + (6*LSPB) = 6336
_ds_store_b32 v[vgprLocalWriteAddrB], v[vgprG2LB+7] offset:7392 // lwoB_0_0_7_0 = (0*LSCB)*(MT1J+PAD) + (7*LSPB) = 7392


/* local write swap a */


	;; [unrolled: 1-line block ×3, first 2 shown]
/* local write swap b */


	;; [unrolled: 1-line block ×4, first 2 shown]
s_cmp_eq_u32 s[sgprLoopCounterL] 0x1               // PGR=2 but only 1 loop
s_cbranch_scc1 label_0012                          // PGR=2 but only 1 loop


_global_load_b32 v[vgprG2LA+0], v[vgprGlobalReadAddrA+0:vgprGlobalReadAddrA+0+1], off, offset:0 // G -> Reg 0_0_0_0
_global_load_b32 v[vgprG2LA+1], v[vgprGlobalReadAddrA+2:vgprGlobalReadAddrA+2+1], off, offset:0 // G -> Reg 0_0_1_0
_global_load_b32 v[vgprG2LA+2], v[vgprGlobalReadAddrA+4:vgprGlobalReadAddrA+4+1], off, offset:0 // G -> Reg 0_0_2_0
_global_load_b32 v[vgprG2LA+3], v[vgprGlobalReadAddrA+6:vgprGlobalReadAddrA+6+1], off, offset:0 // G -> Reg 0_0_3_0
_global_load_b32 v[vgprG2LA+4], v[vgprGlobalReadAddrA+8:vgprGlobalReadAddrA+8+1], off, offset:0 // G -> Reg 0_0_4_0
_global_load_b32 v[vgprG2LA+5], v[vgprGlobalReadAddrA+10:vgprGlobalReadAddrA+10+1], off, offset:0 // G -> Reg 0_0_5_0
_global_load_b32 v[vgprG2LA+6], v[vgprGlobalReadAddrA+12:vgprGlobalReadAddrA+12+1], off, offset:0 // G -> Reg 0_0_6_0
_global_load_b32 v[vgprG2LA+7], v[vgprGlobalReadAddrA+14:vgprGlobalReadAddrA+14+1], off, offset:0 // G -> Reg 0_0_7_0


_global_load_b32 v[vgprG2LB+0], v[vgprGlobalReadAddrB+0:vgprGlobalReadAddrB+0+1], off, offset:0 // G -> Reg 0_0_0_0
_global_load_b32 v[vgprG2LB+1], v[vgprGlobalReadAddrB+2:vgprGlobalReadAddrB+2+1], off, offset:0 // G -> Reg 0_0_1_0
_global_load_b32 v[vgprG2LB+2], v[vgprGlobalReadAddrB+4:vgprGlobalReadAddrB+4+1], off, offset:0 // G -> Reg 0_0_2_0
_global_load_b32 v[vgprG2LB+3], v[vgprGlobalReadAddrB+6:vgprGlobalReadAddrB+6+1], off, offset:0 // G -> Reg 0_0_3_0
_global_load_b32 v[vgprG2LB+4], v[vgprGlobalReadAddrB+8:vgprGlobalReadAddrB+8+1], off, offset:0 // G -> Reg 0_0_4_0
_global_load_b32 v[vgprG2LB+5], v[vgprGlobalReadAddrB+10:vgprGlobalReadAddrB+10+1], off, offset:0 // G -> Reg 0_0_5_0
_global_load_b32 v[vgprG2LB+6], v[vgprGlobalReadAddrB+12:vgprGlobalReadAddrB+12+1], off, offset:0 // G -> Reg 0_0_6_0
_global_load_b32 v[vgprG2LB+7], v[vgprGlobalReadAddrB+14:vgprGlobalReadAddrB+14+1], off, offset:0 // G -> Reg 0_0_7_0

label_0012:                                        // 

s_waitcnt lgkmcnt(0)                               // lgkmcnt=0 vmcnt=-10prefetch wait for local write

// Skip force waitcnt0
s_barrier //


/* local read prefetch a */

_ds_load_b32 v[vgprValuA_X0_I0+0], v[vgprLocalReadAddrA] offset:0 // L -> Reg lro=0 swapByteOffset=0 ti=64 vIdx=0 rIdx=0 oIdx=0 buffer=0 iui=0
_ds_load_b32 v[vgprValuA_X0_I0+1], v[vgprLocalReadAddrA] offset:4224 // L -> Reg lro=0 swapByteOffset=0 ti=64 vIdx=1 rIdx=0 oIdx=0 buffer=0 iui=0


/* local read prefetch b */

_ds_load_b32 v[vgprValuB_X0_I0+0], v[vgprLocalReadAddrB] offset:0 // L -> Reg lro=0 swapByteOffset=0 ti=64 vIdx=0 rIdx=0 oIdx=0 buffer=0 iui=0
_ds_load_b32 v[vgprValuB_X0_I0+1], v[vgprLocalReadAddrB] offset:4224 // L -> Reg lro=0 swapByteOffset=0 ti=64 vIdx=1 rIdx=0 oIdx=0 buffer=0 iui=0


/* local read inc a */

/* N/A, lro->2 */
/* self.localReadDoCntA 1 self.localReadDoCntB 1 */


/* local read inc b */

/* N/A, lro->2 */
/* self.localReadDoCntA 1 self.localReadDoCntB 1 */


	;; [unrolled: 1-line block ×3, first 2 shown]
/******************************************/
/* Unrolled Loop(s) - Begin               */
/******************************************/

openLoopL_13:
s_cmp_eq_u32 s[sgprLoopCounterL], 0x1              // LoopCounterL < EndCounter
s_cbranch_scc1 label_0014                          // PGR=2 but only 1 loop, toPGR1
s_cmp_le_u32 s[sgprLoopCounterL], 0x2              // LoopCounterL < EndCounter
s_cbranch_scc1 LoopEndL_2                          // do not enter LoopL
LoopBeginL_1:


/******************************************/
/* Unrolled Loop 1/1 - Begin              */
/******************************************/

label_0015: // LoopCopy1 


/* Begin Each Unroll: Check VGPR.checkin for INT8 LW */


	;; [unrolled: 1-line block ×3, first 2 shown]
/* iter 0 */

/*  grEndMfmaIndex:5, lwStartMfmaIndex:7, lwEndMfmaIndex:29  */
/*  numMfmaForLR:1, barrierMfmaIndex:30, LocalWritePerMfma:0.700 */
/*  mfmaIndex:0  */
s_waitcnt lgkmcnt(0)                               // lgkmcnt=0 vmcnt=-1wait for prior local read local write old=0, new=0 newLW=0 newLR=0
v_mfma_f32_32x32x2f32 a[0+0:15+0], v[vgprValuB_X0_I0+0+0+0], v[vgprValuA_X0_I0+0+0+0], a[0:15]
/*  mfmaIndex:1  */
_ds_load_b32 v[vgprValuA_X1_I0+0], v[vgprLocalReadAddrA] offset:8 // L -> Reg lro=2 swapByteOffset=0 ti=64 vIdx=0 rIdx=0 oIdx=0 buffer=1 iui=0
_ds_load_b32 v[vgprValuB_X1_I0+0], v[vgprLocalReadAddrB] offset:8 // L -> Reg lro=2 swapByteOffset=0 ti=64 vIdx=0 rIdx=0 oIdx=0 buffer=1 iui=0
_ds_load_b32 v[vgprValuA_X1_I0+1], v[vgprLocalReadAddrA] offset:4232 // L -> Reg lro=2 swapByteOffset=0 ti=64 vIdx=1 rIdx=0 oIdx=0 buffer=1 iui=0
_ds_load_b32 v[vgprValuB_X1_I0+1], v[vgprLocalReadAddrB] offset:4232 // L -> Reg lro=2 swapByteOffset=0 ti=64 vIdx=1 rIdx=0 oIdx=0 buffer=1 iui=0
/* localReadsVacancy: latencyLeft 5 */
_ds_load_b32 v[vgprValuA_X2_I0+0], v[vgprLocalReadAddrA] offset:16 // L -> Reg lro=4 swapByteOffset=0 ti=64 vIdx=0 rIdx=0 oIdx=0 buffer=2 iui=0
_ds_load_b32 v[vgprValuB_X2_I0+0], v[vgprLocalReadAddrB] offset:16 // L -> Reg lro=4 swapByteOffset=0 ti=64 vIdx=0 rIdx=0 oIdx=0 buffer=2 iui=0

/* global read inc A loopL */
_v_add_co_u32  v[vgprGlobalReadAddrA+0+0], vcc, v[vgprGlobalReadAddrA+0+0], v[vgprGlobalReadIncsA+0+0] // gra += incAL (lower)
_v_addc_co_u32 v[vgprGlobalReadAddrA+0+1], vcc, v[vgprGlobalReadAddrA+0+1], v[vgprGlobalReadIncsA+0+1], vcc // gra += incAL (upper)
_v_add_co_u32  v[vgprGlobalReadAddrA+2+0], vcc, v[vgprGlobalReadAddrA+2+0], v[vgprGlobalReadIncsA+0+0] // gra += incAL (lower)
_v_addc_co_u32 v[vgprGlobalReadAddrA+2+1], vcc, v[vgprGlobalReadAddrA+2+1], v[vgprGlobalReadIncsA+0+1], vcc // gra += incAL (upper)
	;; [unrolled: 2-line block ×3, first 2 shown]
_v_add_co_u32  v[vgprGlobalReadAddrA+6+0], vcc, v[vgprGlobalReadAddrA+6+0], v[vgprGlobalReadIncsA+0+0] // gra += incAL (lower)
v_mfma_f32_32x32x2f32 a[16+0:31+0], v[vgprValuB_X0_I0+0+0+0], v[vgprValuA_X0_I0+1+0+0], a[16:31]
/*  mfmaIndex:2  */
/* localReadsVacancy: latencyLeft 13 */
_ds_load_b32 v[vgprValuA_X2_I0+1], v[vgprLocalReadAddrA] offset:4240 // L -> Reg lro=4 swapByteOffset=0 ti=64 vIdx=1 rIdx=0 oIdx=0 buffer=2 iui=0
_ds_load_b32 v[vgprValuB_X2_I0+1], v[vgprLocalReadAddrB] offset:4240 // L -> Reg lro=4 swapByteOffset=0 ti=64 vIdx=1 rIdx=0 oIdx=0 buffer=2 iui=0
_ds_load_b32 v[vgprValuA_X3_I0+0], v[vgprLocalReadAddrA] offset:24 // L -> Reg lro=6 swapByteOffset=0 ti=64 vIdx=0 rIdx=0 oIdx=0 buffer=3 iui=0
_ds_load_b32 v[vgprValuB_X3_I0+0], v[vgprLocalReadAddrB] offset:24 // L -> Reg lro=6 swapByteOffset=0 ti=64 vIdx=0 rIdx=0 oIdx=0 buffer=3 iui=0
_ds_load_b32 v[vgprValuA_X3_I0+1], v[vgprLocalReadAddrA] offset:4248 // L -> Reg lro=6 swapByteOffset=0 ti=64 vIdx=1 rIdx=0 oIdx=0 buffer=3 iui=0
_ds_load_b32 v[vgprValuB_X3_I0+1], v[vgprLocalReadAddrB] offset:4248 // L -> Reg lro=6 swapByteOffset=0 ti=64 vIdx=1 rIdx=0 oIdx=0 buffer=3 iui=0
_v_addc_co_u32 v[vgprGlobalReadAddrA+6+1], vcc, v[vgprGlobalReadAddrA+6+1], v[vgprGlobalReadIncsA+0+1], vcc // gra += incAL (upper)
_v_add_co_u32  v[vgprGlobalReadAddrA+8+0], vcc, v[vgprGlobalReadAddrA+8+0], v[vgprGlobalReadIncsA+0+0] // gra += incAL (lower)
_v_addc_co_u32 v[vgprGlobalReadAddrA+8+1], vcc, v[vgprGlobalReadAddrA+8+1], v[vgprGlobalReadIncsA+0+1], vcc // gra += incAL (upper)
_v_add_co_u32  v[vgprGlobalReadAddrA+10+0], vcc, v[vgprGlobalReadAddrA+10+0], v[vgprGlobalReadIncsA+0+0] // gra += incAL (lower)
	;; [unrolled: 2-line block ×3, first 2 shown]
_v_addc_co_u32 v[vgprGlobalReadAddrA+12+1], vcc, v[vgprGlobalReadAddrA+12+1], v[vgprGlobalReadIncsA+0+1], vcc // gra += incAL (upper)
v_mfma_f32_32x32x2f32 a[48+0:63+0], v[vgprValuB_X0_I0+1+0+0], v[vgprValuA_X0_I0+1+0+0], a[48:63]
/*  mfmaIndex:3  */
/* localReadsVacancy: latencyLeft 13 */
_ds_load_b32 v[vgprValuA_X4_I0+0], v[vgprLocalReadAddrA] offset:32 // L -> Reg lro=8 swapByteOffset=0 ti=64 vIdx=0 rIdx=0 oIdx=0 buffer=4 iui=0
_ds_load_b32 v[vgprValuB_X4_I0+0], v[vgprLocalReadAddrB] offset:32 // L -> Reg lro=8 swapByteOffset=0 ti=64 vIdx=0 rIdx=0 oIdx=0 buffer=4 iui=0
_ds_load_b32 v[vgprValuA_X4_I0+1], v[vgprLocalReadAddrA] offset:4256 // L -> Reg lro=8 swapByteOffset=0 ti=64 vIdx=1 rIdx=0 oIdx=0 buffer=4 iui=0
_ds_load_b32 v[vgprValuB_X4_I0+1], v[vgprLocalReadAddrB] offset:4256 // L -> Reg lro=8 swapByteOffset=0 ti=64 vIdx=1 rIdx=0 oIdx=0 buffer=4 iui=0
_ds_load_b32 v[vgprValuA_X5_I0+0], v[vgprLocalReadAddrA] offset:40 // L -> Reg lro=10 swapByteOffset=0 ti=64 vIdx=0 rIdx=0 oIdx=0 buffer=5 iui=0
_ds_load_b32 v[vgprValuB_X5_I0+0], v[vgprLocalReadAddrB] offset:40 // L -> Reg lro=10 swapByteOffset=0 ti=64 vIdx=0 rIdx=0 oIdx=0 buffer=5 iui=0
_v_add_co_u32  v[vgprGlobalReadAddrA+14+0], vcc, v[vgprGlobalReadAddrA+14+0], v[vgprGlobalReadIncsA+0+0] // gra += incAL (lower)
_v_addc_co_u32 v[vgprGlobalReadAddrA+14+1], vcc, v[vgprGlobalReadAddrA+14+1], v[vgprGlobalReadIncsA+0+1], vcc // gra += incAL (upper)

/* global read inc B loopL */
_v_add_co_u32  v[vgprGlobalReadAddrB+0+0], vcc, v[vgprGlobalReadAddrB+0+0], v[vgprGlobalReadIncsB+0+0] // gra += incBL (lower)
_v_addc_co_u32 v[vgprGlobalReadAddrB+0+1], vcc, v[vgprGlobalReadAddrB+0+1], v[vgprGlobalReadIncsB+0+1], vcc // gra += incBL (upper)
_v_add_co_u32  v[vgprGlobalReadAddrB+2+0], vcc, v[vgprGlobalReadAddrB+2+0], v[vgprGlobalReadIncsB+0+0] // gra += incBL (lower)
_v_addc_co_u32 v[vgprGlobalReadAddrB+2+1], vcc, v[vgprGlobalReadAddrB+2+1], v[vgprGlobalReadIncsB+0+1], vcc // gra += incBL (upper)
_v_add_co_u32  v[vgprGlobalReadAddrB+4+0], vcc, v[vgprGlobalReadAddrB+4+0], v[vgprGlobalReadIncsB+0+0] // gra += incBL (lower)
v_mfma_f32_32x32x2f32 a[32+0:47+0], v[vgprValuB_X0_I0+1+0+0], v[vgprValuA_X0_I0+0+0+0], a[32:47]
/* numPrefetchIter=0 */
/* dataAtIterA=-1 numReadsIterA=1 skipReadsIterA=1 readsPerIterA=2 */
/* dataAtIterB=-1 numReadsIterB=1 skipReadsIterB=1 readsPerIterB=2 */


/* iter 1 */

/*  grEndMfmaIndex:5, lwStartMfmaIndex:7, lwEndMfmaIndex:29  */
/*  numMfmaForLR:1, barrierMfmaIndex:30, LocalWritePerMfma:0.700 */
/*  mfmaIndex:4  */
/* localReadsVacancy: latencyLeft 13 */
_ds_load_b32 v[vgprValuA_X5_I0+1], v[vgprLocalReadAddrA] offset:4264 // L -> Reg lro=10 swapByteOffset=0 ti=64 vIdx=1 rIdx=0 oIdx=0 buffer=5 iui=0
_ds_load_b32 v[vgprValuB_X5_I0+1], v[vgprLocalReadAddrB] offset:4264 // L -> Reg lro=10 swapByteOffset=0 ti=64 vIdx=1 rIdx=0 oIdx=0 buffer=5 iui=0
_ds_load_b32 v[vgprValuA_X6_I0+0], v[vgprLocalReadAddrA] offset:48 // L -> Reg lro=12 swapByteOffset=0 ti=64 vIdx=0 rIdx=0 oIdx=0 buffer=6 iui=0
_ds_load_b32 v[vgprValuB_X6_I0+0], v[vgprLocalReadAddrB] offset:48 // L -> Reg lro=12 swapByteOffset=0 ti=64 vIdx=0 rIdx=0 oIdx=0 buffer=6 iui=0
_ds_load_b32 v[vgprValuA_X6_I0+1], v[vgprLocalReadAddrA] offset:4272 // L -> Reg lro=12 swapByteOffset=0 ti=64 vIdx=1 rIdx=0 oIdx=0 buffer=6 iui=0
_ds_load_b32 v[vgprValuB_X6_I0+1], v[vgprLocalReadAddrB] offset:4272 // L -> Reg lro=12 swapByteOffset=0 ti=64 vIdx=1 rIdx=0 oIdx=0 buffer=6 iui=0
_v_addc_co_u32 v[vgprGlobalReadAddrB+4+1], vcc, v[vgprGlobalReadAddrB+4+1], v[vgprGlobalReadIncsB+0+1], vcc // gra += incBL (upper)
_v_add_co_u32  v[vgprGlobalReadAddrB+6+0], vcc, v[vgprGlobalReadAddrB+6+0], v[vgprGlobalReadIncsB+0+0] // gra += incBL (lower)
_v_addc_co_u32 v[vgprGlobalReadAddrB+6+1], vcc, v[vgprGlobalReadAddrB+6+1], v[vgprGlobalReadIncsB+0+1], vcc // gra += incBL (upper)
_v_add_co_u32  v[vgprGlobalReadAddrB+8+0], vcc, v[vgprGlobalReadAddrB+8+0], v[vgprGlobalReadIncsB+0+0] // gra += incBL (lower)
	;; [unrolled: 2-line block ×3, first 2 shown]
_v_addc_co_u32 v[vgprGlobalReadAddrB+10+1], vcc, v[vgprGlobalReadAddrB+10+1], v[vgprGlobalReadIncsB+0+1], vcc // gra += incBL (upper)
s_waitcnt lgkmcnt(15)                              // lgkmcnt=0 vmcnt=-1wait for prior local read local write old=4, new=4 newLW=0 newLR=0
v_mfma_f32_32x32x2f32 a[0+0:15+0], v[vgprValuB_X1_I0+0+0+0], v[vgprValuA_X1_I0+0+0+0], a[0:15]
/*  mfmaIndex:5  */
/* localReadsVacancy: latencyLeft 13 */
_ds_load_b32 v[vgprValuA_X7_I0+0], v[vgprLocalReadAddrA] offset:56 // L -> Reg lro=14 swapByteOffset=0 ti=64 vIdx=0 rIdx=0 oIdx=0 buffer=7 iui=0
_ds_load_b32 v[vgprValuB_X7_I0+0], v[vgprLocalReadAddrB] offset:56 // L -> Reg lro=14 swapByteOffset=0 ti=64 vIdx=0 rIdx=0 oIdx=0 buffer=7 iui=0
_ds_load_b32 v[vgprValuA_X7_I0+1], v[vgprLocalReadAddrA] offset:4280 // L -> Reg lro=14 swapByteOffset=0 ti=64 vIdx=1 rIdx=0 oIdx=0 buffer=7 iui=0
_ds_load_b32 v[vgprValuB_X7_I0+1], v[vgprLocalReadAddrB] offset:4280 // L -> Reg lro=14 swapByteOffset=0 ti=64 vIdx=1 rIdx=0 oIdx=0 buffer=7 iui=0
_v_add_co_u32  v[vgprGlobalReadAddrB+12+0], vcc, v[vgprGlobalReadAddrB+12+0], v[vgprGlobalReadIncsB+0+0] // gra += incBL (lower)
_v_addc_co_u32 v[vgprGlobalReadAddrB+12+1], vcc, v[vgprGlobalReadAddrB+12+1], v[vgprGlobalReadIncsB+0+1], vcc // gra += incBL (upper)
_v_add_co_u32  v[vgprGlobalReadAddrB+14+0], vcc, v[vgprGlobalReadAddrB+14+0], v[vgprGlobalReadIncsB+0+0] // gra += incBL (lower)
_v_addc_co_u32 v[vgprGlobalReadAddrB+14+1], vcc, v[vgprGlobalReadAddrB+14+1], v[vgprGlobalReadIncsB+0+1], vcc // gra += incBL (upper)
v_mfma_f32_32x32x2f32 a[16+0:31+0], v[vgprValuB_X1_I0+0+0+0], v[vgprValuA_X1_I0+1+0+0], a[16:31]
/*  mfmaIndex:6  */
/* localReadsVacancy: latencyLeft 13 */
/* 1 LDS buffer: read-sync-write */
s_waitcnt lgkmcnt(0)                               // 
s_barrier                                          // 
v_mfma_f32_32x32x2f32 a[48+0:63+0], v[vgprValuB_X1_I0+1+0+0], v[vgprValuA_X1_I0+1+0+0], a[48:63]
/*  mfmaIndex:7  */
/* localReadsVacancy: latencyLeft 9 */
/* sched write - iter 1 writesPerItem=1 */
s_waitcnt vmcnt(0)                                 // lgkmcnt=-1 vmcnt=0wait for global read before writing to local
_ds_store_b32 v[vgprLocalWriteAddrA], v[vgprG2LA+0] offset:0 // lwoA_0_0_0_0 = (0*LSCA)*(MT0I+PAD) + (0*LSPA) = 0
v_mfma_f32_32x32x2f32 a[32+0:47+0], v[vgprValuB_X1_I0+1+0+0], v[vgprValuA_X1_I0+0+0+0], a[32:47]
/* numPrefetchIter=0 */
/* dataAtIterA=0 numReadsIterA=2 skipReadsIterA=1 readsPerIterA=2 */
/* dataAtIterB=0 numReadsIterB=2 skipReadsIterB=1 readsPerIterB=2 */


/* iter 2 */

/*  grEndMfmaIndex:5, lwStartMfmaIndex:7, lwEndMfmaIndex:29  */
/*  numMfmaForLR:1, barrierMfmaIndex:30, LocalWritePerMfma:0.700 */
/*  mfmaIndex:8  */
_global_load_b32 v[vgprG2LA+0], v[vgprGlobalReadAddrA+0:vgprGlobalReadAddrA+0+1], off, offset:0 // G -> Reg 0_0_0_0
/* sched write - iter 2 writesPerItem=1 */
s_waitcnt vmcnt(0)                                 // lgkmcnt=-1 vmcnt=0wait for global read before writing to local
_ds_store_b32 v[vgprLocalWriteAddrA], v[vgprG2LA+1] offset:1056 // lwoA_0_0_1_0 = (0*LSCA)*(MT0I+PAD) + (1*LSPA) = 1056
v_mfma_f32_32x32x2f32 a[0+0:15+0], v[vgprValuB_X2_I0+0+0+0], v[vgprValuA_X2_I0+0+0+0], a[0:15]
/*  mfmaIndex:9  */
_global_load_b32 v[vgprG2LA+1], v[vgprGlobalReadAddrA+2:vgprGlobalReadAddrA+2+1], off, offset:0 // G -> Reg 0_0_1_0
/* sched write - iter 2 writesPerItem=1 */
s_waitcnt vmcnt(0)                                 // lgkmcnt=-1 vmcnt=0wait for global read before writing to local
_ds_store_b32 v[vgprLocalWriteAddrA], v[vgprG2LA+2] offset:2112 // lwoA_0_0_2_0 = (0*LSCA)*(MT0I+PAD) + (2*LSPA) = 2112
v_mfma_f32_32x32x2f32 a[16+0:31+0], v[vgprValuB_X2_I0+0+0+0], v[vgprValuA_X2_I0+1+0+0], a[16:31]
/*  mfmaIndex:10  */
_global_load_b32 v[vgprG2LA+2], v[vgprGlobalReadAddrA+4:vgprGlobalReadAddrA+4+1], off, offset:0 // G -> Reg 0_0_2_0
v_mfma_f32_32x32x2f32 a[48+0:63+0], v[vgprValuB_X2_I0+1+0+0], v[vgprValuA_X2_I0+1+0+0], a[48:63]
/*  mfmaIndex:11  */
/* sched write - iter 2 writesPerItem=1 */
s_waitcnt vmcnt(0)                                 // lgkmcnt=-1 vmcnt=0wait for global read before writing to local
_ds_store_b32 v[vgprLocalWriteAddrA], v[vgprG2LA+3] offset:3168 // lwoA_0_0_3_0 = (0*LSCA)*(MT0I+PAD) + (3*LSPA) = 3168
v_mfma_f32_32x32x2f32 a[32+0:47+0], v[vgprValuB_X2_I0+1+0+0], v[vgprValuA_X2_I0+0+0+0], a[32:47]


/* iter 3 */

/*  grEndMfmaIndex:5, lwStartMfmaIndex:7, lwEndMfmaIndex:29  */
/*  numMfmaForLR:1, barrierMfmaIndex:30, LocalWritePerMfma:0.700 */
/*  mfmaIndex:12  */
_global_load_b32 v[vgprG2LA+3], v[vgprGlobalReadAddrA+6:vgprGlobalReadAddrA+6+1], off, offset:0 // G -> Reg 0_0_3_0
/* sched write - iter 3 writesPerItem=1 */
s_waitcnt vmcnt(0)                                 // lgkmcnt=-1 vmcnt=0wait for global read before writing to local
_ds_store_b32 v[vgprLocalWriteAddrA], v[vgprG2LA+4] offset:4224 // lwoA_0_0_4_0 = (0*LSCA)*(MT0I+PAD) + (4*LSPA) = 4224
v_mfma_f32_32x32x2f32 a[0+0:15+0], v[vgprValuB_X3_I0+0+0+0], v[vgprValuA_X3_I0+0+0+0], a[0:15]
/*  mfmaIndex:13  */
_global_load_b32 v[vgprG2LA+4], v[vgprGlobalReadAddrA+8:vgprGlobalReadAddrA+8+1], off, offset:0 // G -> Reg 0_0_4_0
v_mfma_f32_32x32x2f32 a[16+0:31+0], v[vgprValuB_X3_I0+0+0+0], v[vgprValuA_X3_I0+1+0+0], a[16:31]
/*  mfmaIndex:14  */
/* sched write - iter 3 writesPerItem=1 */
s_waitcnt vmcnt(0)                                 // lgkmcnt=-1 vmcnt=0wait for global read before writing to local
_ds_store_b32 v[vgprLocalWriteAddrA], v[vgprG2LA+5] offset:5280 // lwoA_0_0_5_0 = (0*LSCA)*(MT0I+PAD) + (5*LSPA) = 5280
v_mfma_f32_32x32x2f32 a[48+0:63+0], v[vgprValuB_X3_I0+1+0+0], v[vgprValuA_X3_I0+1+0+0], a[48:63]
/*  mfmaIndex:15  */
_global_load_b32 v[vgprG2LA+5], v[vgprGlobalReadAddrA+10:vgprGlobalReadAddrA+10+1], off, offset:0 // G -> Reg 0_0_5_0
/* sched write - iter 3 writesPerItem=1 */
s_waitcnt vmcnt(0)                                 // lgkmcnt=-1 vmcnt=0wait for global read before writing to local
_ds_store_b32 v[vgprLocalWriteAddrA], v[vgprG2LA+6] offset:6336 // lwoA_0_0_6_0 = (0*LSCA)*(MT0I+PAD) + (6*LSPA) = 6336
v_mfma_f32_32x32x2f32 a[32+0:47+0], v[vgprValuB_X3_I0+1+0+0], v[vgprValuA_X3_I0+0+0+0], a[32:47]


/* iter 4 */

/*  grEndMfmaIndex:5, lwStartMfmaIndex:7, lwEndMfmaIndex:29  */
/*  numMfmaForLR:1, barrierMfmaIndex:30, LocalWritePerMfma:0.700 */
/*  mfmaIndex:16  */
_global_load_b32 v[vgprG2LA+6], v[vgprGlobalReadAddrA+12:vgprGlobalReadAddrA+12+1], off, offset:0 // G -> Reg 0_0_6_0
v_mfma_f32_32x32x2f32 a[0+0:15+0], v[vgprValuB_X4_I0+0+0+0], v[vgprValuA_X4_I0+0+0+0], a[0:15]
/*  mfmaIndex:17  */
/* sched write - iter 4 writesPerItem=1 */
s_waitcnt vmcnt(0)                                 // lgkmcnt=-1 vmcnt=0wait for global read before writing to local
_ds_store_b32 v[vgprLocalWriteAddrA], v[vgprG2LA+7] offset:7392 // lwoA_0_0_7_0 = (0*LSCA)*(MT0I+PAD) + (7*LSPA) = 7392
v_mfma_f32_32x32x2f32 a[16+0:31+0], v[vgprValuB_X4_I0+0+0+0], v[vgprValuA_X4_I0+1+0+0], a[16:31]
/*  mfmaIndex:18  */
_global_load_b32 v[vgprG2LA+7], v[vgprGlobalReadAddrA+14:vgprGlobalReadAddrA+14+1], off, offset:0 // G -> Reg 0_0_7_0
/* sched write - iter 4 writesPerItem=1 */
s_waitcnt vmcnt(0)                                 // lgkmcnt=-1 vmcnt=0wait for global read before writing to local
_ds_store_b32 v[vgprLocalWriteAddrB], v[vgprG2LB+0] offset:0 // lwoB_0_0_0_0 = (0*LSCB)*(MT1J+PAD) + (0*LSPB) = 0
v_mfma_f32_32x32x2f32 a[48+0:63+0], v[vgprValuB_X4_I0+1+0+0], v[vgprValuA_X4_I0+1+0+0], a[48:63]
/*  mfmaIndex:19  */
_global_load_b32 v[vgprG2LB+0], v[vgprGlobalReadAddrB+0:vgprGlobalReadAddrB+0+1], off, offset:0 // G -> Reg 0_0_0_0
/* sched write - iter 4 writesPerItem=1 */
s_waitcnt vmcnt(0)                                 // lgkmcnt=-1 vmcnt=0wait for global read before writing to local
_ds_store_b32 v[vgprLocalWriteAddrB], v[vgprG2LB+1] offset:1056 // lwoB_0_0_1_0 = (0*LSCB)*(MT1J+PAD) + (1*LSPB) = 1056
v_mfma_f32_32x32x2f32 a[32+0:47+0], v[vgprValuB_X4_I0+1+0+0], v[vgprValuA_X4_I0+0+0+0], a[32:47]


/* iter 5 */

/*  grEndMfmaIndex:5, lwStartMfmaIndex:7, lwEndMfmaIndex:29  */
/*  numMfmaForLR:1, barrierMfmaIndex:30, LocalWritePerMfma:0.700 */
/*  mfmaIndex:20  */
_global_load_b32 v[vgprG2LB+1], v[vgprGlobalReadAddrB+2:vgprGlobalReadAddrB+2+1], off, offset:0 // G -> Reg 0_0_1_0
v_mfma_f32_32x32x2f32 a[0+0:15+0], v[vgprValuB_X5_I0+0+0+0], v[vgprValuA_X5_I0+0+0+0], a[0:15]
/*  mfmaIndex:21  */
/* sched write - iter 5 writesPerItem=1 */
s_waitcnt vmcnt(0)                                 // lgkmcnt=-1 vmcnt=0wait for global read before writing to local
_ds_store_b32 v[vgprLocalWriteAddrB], v[vgprG2LB+2] offset:2112 // lwoB_0_0_2_0 = (0*LSCB)*(MT1J+PAD) + (2*LSPB) = 2112
v_mfma_f32_32x32x2f32 a[16+0:31+0], v[vgprValuB_X5_I0+0+0+0], v[vgprValuA_X5_I0+1+0+0], a[16:31]
/*  mfmaIndex:22  */
_global_load_b32 v[vgprG2LB+2], v[vgprGlobalReadAddrB+4:vgprGlobalReadAddrB+4+1], off, offset:0 // G -> Reg 0_0_2_0
/* sched write - iter 5 writesPerItem=1 */
s_waitcnt vmcnt(0)                                 // lgkmcnt=-1 vmcnt=0wait for global read before writing to local
_ds_store_b32 v[vgprLocalWriteAddrB], v[vgprG2LB+3] offset:3168 // lwoB_0_0_3_0 = (0*LSCB)*(MT1J+PAD) + (3*LSPB) = 3168
v_mfma_f32_32x32x2f32 a[48+0:63+0], v[vgprValuB_X5_I0+1+0+0], v[vgprValuA_X5_I0+1+0+0], a[48:63]
/*  mfmaIndex:23  */
_global_load_b32 v[vgprG2LB+3], v[vgprGlobalReadAddrB+6:vgprGlobalReadAddrB+6+1], off, offset:0 // G -> Reg 0_0_3_0
v_mfma_f32_32x32x2f32 a[32+0:47+0], v[vgprValuB_X5_I0+1+0+0], v[vgprValuA_X5_I0+0+0+0], a[32:47]


/* iter 6 (reset local read pointers iteration)  (swap local read pointers iteration)  */

/*  grEndMfmaIndex:5, lwStartMfmaIndex:7, lwEndMfmaIndex:29  */
/*  numMfmaForLR:1, barrierMfmaIndex:30, LocalWritePerMfma:0.700 */
/*  mfmaIndex:24  */
/* sched write - iter 6 writesPerItem=1 */
s_waitcnt vmcnt(0)                                 // lgkmcnt=-1 vmcnt=0wait for global read before writing to local
_ds_store_b32 v[vgprLocalWriteAddrB], v[vgprG2LB+4] offset:4224 // lwoB_0_0_4_0 = (0*LSCB)*(MT1J+PAD) + (4*LSPB) = 4224
v_mfma_f32_32x32x2f32 a[0+0:15+0], v[vgprValuB_X6_I0+0+0+0], v[vgprValuA_X6_I0+0+0+0], a[0:15]
/*  mfmaIndex:25  */
_global_load_b32 v[vgprG2LB+4], v[vgprGlobalReadAddrB+8:vgprGlobalReadAddrB+8+1], off, offset:0 // G -> Reg 0_0_4_0
/* sched write - iter 6 writesPerItem=1 */
s_waitcnt vmcnt(0)                                 // lgkmcnt=-1 vmcnt=0wait for global read before writing to local
_ds_store_b32 v[vgprLocalWriteAddrB], v[vgprG2LB+5] offset:5280 // lwoB_0_0_5_0 = (0*LSCB)*(MT1J+PAD) + (5*LSPB) = 5280
v_mfma_f32_32x32x2f32 a[16+0:31+0], v[vgprValuB_X6_I0+0+0+0], v[vgprValuA_X6_I0+1+0+0], a[16:31]
/*  mfmaIndex:26  */
_global_load_b32 v[vgprG2LB+5], v[vgprGlobalReadAddrB+10:vgprGlobalReadAddrB+10+1], off, offset:0 // G -> Reg 0_0_5_0
v_mfma_f32_32x32x2f32 a[48+0:63+0], v[vgprValuB_X6_I0+1+0+0], v[vgprValuA_X6_I0+1+0+0], a[48:63]
/*  mfmaIndex:27  */
/* sched write - iter 6 writesPerItem=1 */
s_waitcnt vmcnt(0)                                 // lgkmcnt=-1 vmcnt=0wait for global read before writing to local
_ds_store_b32 v[vgprLocalWriteAddrB], v[vgprG2LB+6] offset:6336 // lwoB_0_0_6_0 = (0*LSCB)*(MT1J+PAD) + (6*LSPB) = 6336

/* local read swap offsets a */

/* local read swap offsets b */

/* local read init pointers a */

/* localReadInitPointers */

/* local read init pointers b */

/* localReadInitPointers */
v_mfma_f32_32x32x2f32 a[32+0:47+0], v[vgprValuB_X6_I0+1+0+0], v[vgprValuA_X6_I0+0+0+0], a[32:47]


/* iter 7 (swap and reset local write pointers iteration)  */

/*  grEndMfmaIndex:5, lwStartMfmaIndex:7, lwEndMfmaIndex:29  */
/*  numMfmaForLR:1, barrierMfmaIndex:30, LocalWritePerMfma:0.700 */
/*  mfmaIndex:28  */
_global_load_b32 v[vgprG2LB+6], v[vgprGlobalReadAddrB+12:vgprGlobalReadAddrB+12+1], off, offset:0 // G -> Reg 0_0_6_0
/* sched write - iter 7 writesPerItem=1 */
s_waitcnt vmcnt(0)                                 // lgkmcnt=-1 vmcnt=0wait for global read before writing to local
_ds_store_b32 v[vgprLocalWriteAddrB], v[vgprG2LB+7] offset:7392 // lwoB_0_0_7_0 = (0*LSCB)*(MT1J+PAD) + (7*LSPB) = 7392
v_mfma_f32_32x32x2f32 a[0+0:15+0], v[vgprValuB_X7_I0+0+0+0], v[vgprValuA_X7_I0+0+0+0], a[0:15]
/*  mfmaIndex:29  */
_global_load_b32 v[vgprG2LB+7], v[vgprGlobalReadAddrB+14:vgprGlobalReadAddrB+14+1], off, offset:0 // G -> Reg 0_0_7_0

/* local write swap offsets a */

/* local write swap offsets b */
v_mfma_f32_32x32x2f32 a[16+0:31+0], v[vgprValuB_X7_I0+0+0+0], v[vgprValuA_X7_I0+1+0+0], a[16:31]
/*  mfmaIndex:30  */
s_waitcnt lgkmcnt(0)                               // lgkmcnt=0 vmcnt=-13wait for local write
// Skip force waitcnt0
s_barrier //
v_mfma_f32_32x32x2f32 a[48+0:63+0], v[vgprValuB_X7_I0+1+0+0], v[vgprValuA_X7_I0+1+0+0], a[48:63]
/*  mfmaIndex:31  */
_ds_load_b32 v[vgprValuA_X0_I0+0], v[vgprLocalReadAddrA] offset:0 // L -> Reg lro=0 swapByteOffset=0 ti=64 vIdx=0 rIdx=0 oIdx=0 buffer=0 iui=0
_ds_load_b32 v[vgprValuB_X0_I0+0], v[vgprLocalReadAddrB] offset:0 // L -> Reg lro=0 swapByteOffset=0 ti=64 vIdx=0 rIdx=0 oIdx=0 buffer=0 iui=0
_ds_load_b32 v[vgprValuA_X0_I0+1], v[vgprLocalReadAddrA] offset:4224 // L -> Reg lro=0 swapByteOffset=0 ti=64 vIdx=1 rIdx=0 oIdx=0 buffer=0 iui=0
_ds_load_b32 v[vgprValuB_X0_I0+1], v[vgprLocalReadAddrB] offset:4224 // L -> Reg lro=0 swapByteOffset=0 ti=64 vIdx=1 rIdx=0 oIdx=0 buffer=0 iui=0
v_mfma_f32_32x32x2f32 a[32+0:47+0], v[vgprValuB_X7_I0+1+0+0], v[vgprValuA_X7_I0+0+0+0], a[32:47]


/******************************************/
/* Unrolled Loop - End                    */
/******************************************/


/* closeLoop loopL finalLoop=1 tailLoop=0 */
s_sub_u32 s[sgprLoopCounterL], s[sgprLoopCounterL], 1 // dec counterL
s_cmp_eq_i32 s[sgprLoopCounterL], 0x2              // counterL==2
s_cbranch_scc0 LoopBeginL_1                        // restart LoopL
LoopEndL_2:


/* Before NLL: Check VGPR.checkin for INT8 LW */


/******************************************/
/* Ord. NoGlobalLoadLoop - Begin                                      */
/******************************************/


	;; [unrolled: 1-line block ×3, first 2 shown]
/* iter 0 */

/*  grEndMfmaIndex:5, lwStartMfmaIndex:7, lwEndMfmaIndex:29  */
/*  numMfmaForLR:1, barrierMfmaIndex:30, LocalWritePerMfma:0.700 */
/*  mfmaIndex:0  */
s_waitcnt lgkmcnt(0)                               // lgkmcnt=0 vmcnt=-1wait for prior local read local write old=0, new=0 newLW=0 newLR=0
v_mfma_f32_32x32x2f32 a[0+0:15+0], v[vgprValuB_X0_I0+0+0+0], v[vgprValuA_X0_I0+0+0+0], a[0:15]
/*  mfmaIndex:1  */
_ds_load_b32 v[vgprValuA_X1_I0+0], v[vgprLocalReadAddrA] offset:8 // L -> Reg lro=2 swapByteOffset=0 ti=64 vIdx=0 rIdx=0 oIdx=0 buffer=1 iui=0
_ds_load_b32 v[vgprValuB_X1_I0+0], v[vgprLocalReadAddrB] offset:8 // L -> Reg lro=2 swapByteOffset=0 ti=64 vIdx=0 rIdx=0 oIdx=0 buffer=1 iui=0
_ds_load_b32 v[vgprValuA_X1_I0+1], v[vgprLocalReadAddrA] offset:4232 // L -> Reg lro=2 swapByteOffset=0 ti=64 vIdx=1 rIdx=0 oIdx=0 buffer=1 iui=0
_ds_load_b32 v[vgprValuB_X1_I0+1], v[vgprLocalReadAddrB] offset:4232 // L -> Reg lro=2 swapByteOffset=0 ti=64 vIdx=1 rIdx=0 oIdx=0 buffer=1 iui=0
/* localReadsVacancy: latencyLeft 5 */
_ds_load_b32 v[vgprValuA_X2_I0+0], v[vgprLocalReadAddrA] offset:16 // L -> Reg lro=4 swapByteOffset=0 ti=64 vIdx=0 rIdx=0 oIdx=0 buffer=2 iui=0
_ds_load_b32 v[vgprValuB_X2_I0+0], v[vgprLocalReadAddrB] offset:16 // L -> Reg lro=4 swapByteOffset=0 ti=64 vIdx=0 rIdx=0 oIdx=0 buffer=2 iui=0

/* global read inc A loopL */
_v_add_co_u32  v[vgprGlobalReadAddrA+0+0], vcc, v[vgprGlobalReadAddrA+0+0], v[vgprGlobalReadIncsA+0+0] // gra += incAL (lower)
_v_addc_co_u32 v[vgprGlobalReadAddrA+0+1], vcc, v[vgprGlobalReadAddrA+0+1], v[vgprGlobalReadIncsA+0+1], vcc // gra += incAL (upper)
_v_add_co_u32  v[vgprGlobalReadAddrA+2+0], vcc, v[vgprGlobalReadAddrA+2+0], v[vgprGlobalReadIncsA+0+0] // gra += incAL (lower)
_v_addc_co_u32 v[vgprGlobalReadAddrA+2+1], vcc, v[vgprGlobalReadAddrA+2+1], v[vgprGlobalReadIncsA+0+1], vcc // gra += incAL (upper)
	;; [unrolled: 2-line block ×3, first 2 shown]
_v_add_co_u32  v[vgprGlobalReadAddrA+6+0], vcc, v[vgprGlobalReadAddrA+6+0], v[vgprGlobalReadIncsA+0+0] // gra += incAL (lower)
v_mfma_f32_32x32x2f32 a[16+0:31+0], v[vgprValuB_X0_I0+0+0+0], v[vgprValuA_X0_I0+1+0+0], a[16:31]
/*  mfmaIndex:2  */
/* localReadsVacancy: latencyLeft 13 */
_ds_load_b32 v[vgprValuA_X2_I0+1], v[vgprLocalReadAddrA] offset:4240 // L -> Reg lro=4 swapByteOffset=0 ti=64 vIdx=1 rIdx=0 oIdx=0 buffer=2 iui=0
_ds_load_b32 v[vgprValuB_X2_I0+1], v[vgprLocalReadAddrB] offset:4240 // L -> Reg lro=4 swapByteOffset=0 ti=64 vIdx=1 rIdx=0 oIdx=0 buffer=2 iui=0
_ds_load_b32 v[vgprValuA_X3_I0+0], v[vgprLocalReadAddrA] offset:24 // L -> Reg lro=6 swapByteOffset=0 ti=64 vIdx=0 rIdx=0 oIdx=0 buffer=3 iui=0
_ds_load_b32 v[vgprValuB_X3_I0+0], v[vgprLocalReadAddrB] offset:24 // L -> Reg lro=6 swapByteOffset=0 ti=64 vIdx=0 rIdx=0 oIdx=0 buffer=3 iui=0
_ds_load_b32 v[vgprValuA_X3_I0+1], v[vgprLocalReadAddrA] offset:4248 // L -> Reg lro=6 swapByteOffset=0 ti=64 vIdx=1 rIdx=0 oIdx=0 buffer=3 iui=0
_ds_load_b32 v[vgprValuB_X3_I0+1], v[vgprLocalReadAddrB] offset:4248 // L -> Reg lro=6 swapByteOffset=0 ti=64 vIdx=1 rIdx=0 oIdx=0 buffer=3 iui=0
_v_addc_co_u32 v[vgprGlobalReadAddrA+6+1], vcc, v[vgprGlobalReadAddrA+6+1], v[vgprGlobalReadIncsA+0+1], vcc // gra += incAL (upper)
_v_add_co_u32  v[vgprGlobalReadAddrA+8+0], vcc, v[vgprGlobalReadAddrA+8+0], v[vgprGlobalReadIncsA+0+0] // gra += incAL (lower)
_v_addc_co_u32 v[vgprGlobalReadAddrA+8+1], vcc, v[vgprGlobalReadAddrA+8+1], v[vgprGlobalReadIncsA+0+1], vcc // gra += incAL (upper)
_v_add_co_u32  v[vgprGlobalReadAddrA+10+0], vcc, v[vgprGlobalReadAddrA+10+0], v[vgprGlobalReadIncsA+0+0] // gra += incAL (lower)
	;; [unrolled: 2-line block ×3, first 2 shown]
_v_addc_co_u32 v[vgprGlobalReadAddrA+12+1], vcc, v[vgprGlobalReadAddrA+12+1], v[vgprGlobalReadIncsA+0+1], vcc // gra += incAL (upper)
v_mfma_f32_32x32x2f32 a[48+0:63+0], v[vgprValuB_X0_I0+1+0+0], v[vgprValuA_X0_I0+1+0+0], a[48:63]
/*  mfmaIndex:3  */
/* localReadsVacancy: latencyLeft 13 */
_ds_load_b32 v[vgprValuA_X4_I0+0], v[vgprLocalReadAddrA] offset:32 // L -> Reg lro=8 swapByteOffset=0 ti=64 vIdx=0 rIdx=0 oIdx=0 buffer=4 iui=0
_ds_load_b32 v[vgprValuB_X4_I0+0], v[vgprLocalReadAddrB] offset:32 // L -> Reg lro=8 swapByteOffset=0 ti=64 vIdx=0 rIdx=0 oIdx=0 buffer=4 iui=0
_ds_load_b32 v[vgprValuA_X4_I0+1], v[vgprLocalReadAddrA] offset:4256 // L -> Reg lro=8 swapByteOffset=0 ti=64 vIdx=1 rIdx=0 oIdx=0 buffer=4 iui=0
_ds_load_b32 v[vgprValuB_X4_I0+1], v[vgprLocalReadAddrB] offset:4256 // L -> Reg lro=8 swapByteOffset=0 ti=64 vIdx=1 rIdx=0 oIdx=0 buffer=4 iui=0
_ds_load_b32 v[vgprValuA_X5_I0+0], v[vgprLocalReadAddrA] offset:40 // L -> Reg lro=10 swapByteOffset=0 ti=64 vIdx=0 rIdx=0 oIdx=0 buffer=5 iui=0
_ds_load_b32 v[vgprValuB_X5_I0+0], v[vgprLocalReadAddrB] offset:40 // L -> Reg lro=10 swapByteOffset=0 ti=64 vIdx=0 rIdx=0 oIdx=0 buffer=5 iui=0
_v_add_co_u32  v[vgprGlobalReadAddrA+14+0], vcc, v[vgprGlobalReadAddrA+14+0], v[vgprGlobalReadIncsA+0+0] // gra += incAL (lower)
_v_addc_co_u32 v[vgprGlobalReadAddrA+14+1], vcc, v[vgprGlobalReadAddrA+14+1], v[vgprGlobalReadIncsA+0+1], vcc // gra += incAL (upper)

/* global read inc B loopL */
_v_add_co_u32  v[vgprGlobalReadAddrB+0+0], vcc, v[vgprGlobalReadAddrB+0+0], v[vgprGlobalReadIncsB+0+0] // gra += incBL (lower)
_v_addc_co_u32 v[vgprGlobalReadAddrB+0+1], vcc, v[vgprGlobalReadAddrB+0+1], v[vgprGlobalReadIncsB+0+1], vcc // gra += incBL (upper)
_v_add_co_u32  v[vgprGlobalReadAddrB+2+0], vcc, v[vgprGlobalReadAddrB+2+0], v[vgprGlobalReadIncsB+0+0] // gra += incBL (lower)
_v_addc_co_u32 v[vgprGlobalReadAddrB+2+1], vcc, v[vgprGlobalReadAddrB+2+1], v[vgprGlobalReadIncsB+0+1], vcc // gra += incBL (upper)
_v_add_co_u32  v[vgprGlobalReadAddrB+4+0], vcc, v[vgprGlobalReadAddrB+4+0], v[vgprGlobalReadIncsB+0+0] // gra += incBL (lower)
v_mfma_f32_32x32x2f32 a[32+0:47+0], v[vgprValuB_X0_I0+1+0+0], v[vgprValuA_X0_I0+0+0+0], a[32:47]
/* numPrefetchIter=0 */
/* dataAtIterA=-1 numReadsIterA=1 skipReadsIterA=1 readsPerIterA=2 */
/* dataAtIterB=-1 numReadsIterB=1 skipReadsIterB=1 readsPerIterB=2 */


/* iter 1 */

/*  grEndMfmaIndex:5, lwStartMfmaIndex:7, lwEndMfmaIndex:29  */
/*  numMfmaForLR:1, barrierMfmaIndex:30, LocalWritePerMfma:0.700 */
/*  mfmaIndex:4  */
/* localReadsVacancy: latencyLeft 13 */
_ds_load_b32 v[vgprValuA_X5_I0+1], v[vgprLocalReadAddrA] offset:4264 // L -> Reg lro=10 swapByteOffset=0 ti=64 vIdx=1 rIdx=0 oIdx=0 buffer=5 iui=0
_ds_load_b32 v[vgprValuB_X5_I0+1], v[vgprLocalReadAddrB] offset:4264 // L -> Reg lro=10 swapByteOffset=0 ti=64 vIdx=1 rIdx=0 oIdx=0 buffer=5 iui=0
_ds_load_b32 v[vgprValuA_X6_I0+0], v[vgprLocalReadAddrA] offset:48 // L -> Reg lro=12 swapByteOffset=0 ti=64 vIdx=0 rIdx=0 oIdx=0 buffer=6 iui=0
_ds_load_b32 v[vgprValuB_X6_I0+0], v[vgprLocalReadAddrB] offset:48 // L -> Reg lro=12 swapByteOffset=0 ti=64 vIdx=0 rIdx=0 oIdx=0 buffer=6 iui=0
_ds_load_b32 v[vgprValuA_X6_I0+1], v[vgprLocalReadAddrA] offset:4272 // L -> Reg lro=12 swapByteOffset=0 ti=64 vIdx=1 rIdx=0 oIdx=0 buffer=6 iui=0
_ds_load_b32 v[vgprValuB_X6_I0+1], v[vgprLocalReadAddrB] offset:4272 // L -> Reg lro=12 swapByteOffset=0 ti=64 vIdx=1 rIdx=0 oIdx=0 buffer=6 iui=0
_v_addc_co_u32 v[vgprGlobalReadAddrB+4+1], vcc, v[vgprGlobalReadAddrB+4+1], v[vgprGlobalReadIncsB+0+1], vcc // gra += incBL (upper)
_v_add_co_u32  v[vgprGlobalReadAddrB+6+0], vcc, v[vgprGlobalReadAddrB+6+0], v[vgprGlobalReadIncsB+0+0] // gra += incBL (lower)
_v_addc_co_u32 v[vgprGlobalReadAddrB+6+1], vcc, v[vgprGlobalReadAddrB+6+1], v[vgprGlobalReadIncsB+0+1], vcc // gra += incBL (upper)
_v_add_co_u32  v[vgprGlobalReadAddrB+8+0], vcc, v[vgprGlobalReadAddrB+8+0], v[vgprGlobalReadIncsB+0+0] // gra += incBL (lower)
	;; [unrolled: 2-line block ×3, first 2 shown]
_v_addc_co_u32 v[vgprGlobalReadAddrB+10+1], vcc, v[vgprGlobalReadAddrB+10+1], v[vgprGlobalReadIncsB+0+1], vcc // gra += incBL (upper)
s_waitcnt lgkmcnt(15)                              // lgkmcnt=0 vmcnt=-1wait for prior local read local write old=4, new=4 newLW=0 newLR=0
v_mfma_f32_32x32x2f32 a[0+0:15+0], v[vgprValuB_X1_I0+0+0+0], v[vgprValuA_X1_I0+0+0+0], a[0:15]
/*  mfmaIndex:5  */
/* localReadsVacancy: latencyLeft 13 */
_ds_load_b32 v[vgprValuA_X7_I0+0], v[vgprLocalReadAddrA] offset:56 // L -> Reg lro=14 swapByteOffset=0 ti=64 vIdx=0 rIdx=0 oIdx=0 buffer=7 iui=0
_ds_load_b32 v[vgprValuB_X7_I0+0], v[vgprLocalReadAddrB] offset:56 // L -> Reg lro=14 swapByteOffset=0 ti=64 vIdx=0 rIdx=0 oIdx=0 buffer=7 iui=0
_ds_load_b32 v[vgprValuA_X7_I0+1], v[vgprLocalReadAddrA] offset:4280 // L -> Reg lro=14 swapByteOffset=0 ti=64 vIdx=1 rIdx=0 oIdx=0 buffer=7 iui=0
_ds_load_b32 v[vgprValuB_X7_I0+1], v[vgprLocalReadAddrB] offset:4280 // L -> Reg lro=14 swapByteOffset=0 ti=64 vIdx=1 rIdx=0 oIdx=0 buffer=7 iui=0
_v_add_co_u32  v[vgprGlobalReadAddrB+12+0], vcc, v[vgprGlobalReadAddrB+12+0], v[vgprGlobalReadIncsB+0+0] // gra += incBL (lower)
_v_addc_co_u32 v[vgprGlobalReadAddrB+12+1], vcc, v[vgprGlobalReadAddrB+12+1], v[vgprGlobalReadIncsB+0+1], vcc // gra += incBL (upper)
_v_add_co_u32  v[vgprGlobalReadAddrB+14+0], vcc, v[vgprGlobalReadAddrB+14+0], v[vgprGlobalReadIncsB+0+0] // gra += incBL (lower)
_v_addc_co_u32 v[vgprGlobalReadAddrB+14+1], vcc, v[vgprGlobalReadAddrB+14+1], v[vgprGlobalReadIncsB+0+1], vcc // gra += incBL (upper)
v_mfma_f32_32x32x2f32 a[16+0:31+0], v[vgprValuB_X1_I0+0+0+0], v[vgprValuA_X1_I0+1+0+0], a[16:31]
/*  mfmaIndex:6  */
/* localReadsVacancy: latencyLeft 13 */
/* 1 LDS buffer: read-sync-write */
s_waitcnt lgkmcnt(0)                               // 
s_barrier                                          // 
v_mfma_f32_32x32x2f32 a[48+0:63+0], v[vgprValuB_X1_I0+1+0+0], v[vgprValuA_X1_I0+1+0+0], a[48:63]
/*  mfmaIndex:7  */
/* localReadsVacancy: latencyLeft 9 */
/* sched write - iter 1 writesPerItem=1 */
s_waitcnt vmcnt(0)                                 // lgkmcnt=-1 vmcnt=0wait for global read before writing to local
_ds_store_b32 v[vgprLocalWriteAddrA], v[vgprG2LA+0] offset:0 // lwoA_0_0_0_0 = (0*LSCA)*(MT0I+PAD) + (0*LSPA) = 0
v_mfma_f32_32x32x2f32 a[32+0:47+0], v[vgprValuB_X1_I0+1+0+0], v[vgprValuA_X1_I0+0+0+0], a[32:47]
/* numPrefetchIter=0 */
/* dataAtIterA=0 numReadsIterA=2 skipReadsIterA=1 readsPerIterA=2 */
/* dataAtIterB=0 numReadsIterB=2 skipReadsIterB=1 readsPerIterB=2 */


/* iter 2 */

/*  grEndMfmaIndex:5, lwStartMfmaIndex:7, lwEndMfmaIndex:29  */
/*  numMfmaForLR:1, barrierMfmaIndex:30, LocalWritePerMfma:0.700 */
/*  mfmaIndex:8  */
/* sched write - iter 2 writesPerItem=1 */
s_waitcnt vmcnt(0)                                 // lgkmcnt=-1 vmcnt=0wait for global read before writing to local
_ds_store_b32 v[vgprLocalWriteAddrA], v[vgprG2LA+1] offset:1056 // lwoA_0_0_1_0 = (0*LSCA)*(MT0I+PAD) + (1*LSPA) = 1056
v_mfma_f32_32x32x2f32 a[0+0:15+0], v[vgprValuB_X2_I0+0+0+0], v[vgprValuA_X2_I0+0+0+0], a[0:15]
/*  mfmaIndex:9  */
/* sched write - iter 2 writesPerItem=1 */
s_waitcnt vmcnt(0)                                 // lgkmcnt=-1 vmcnt=0wait for global read before writing to local
_ds_store_b32 v[vgprLocalWriteAddrA], v[vgprG2LA+2] offset:2112 // lwoA_0_0_2_0 = (0*LSCA)*(MT0I+PAD) + (2*LSPA) = 2112
v_mfma_f32_32x32x2f32 a[16+0:31+0], v[vgprValuB_X2_I0+0+0+0], v[vgprValuA_X2_I0+1+0+0], a[16:31]
/*  mfmaIndex:10  */
v_mfma_f32_32x32x2f32 a[48+0:63+0], v[vgprValuB_X2_I0+1+0+0], v[vgprValuA_X2_I0+1+0+0], a[48:63]
/*  mfmaIndex:11  */
/* sched write - iter 2 writesPerItem=1 */
s_waitcnt vmcnt(0)                                 // lgkmcnt=-1 vmcnt=0wait for global read before writing to local
_ds_store_b32 v[vgprLocalWriteAddrA], v[vgprG2LA+3] offset:3168 // lwoA_0_0_3_0 = (0*LSCA)*(MT0I+PAD) + (3*LSPA) = 3168
v_mfma_f32_32x32x2f32 a[32+0:47+0], v[vgprValuB_X2_I0+1+0+0], v[vgprValuA_X2_I0+0+0+0], a[32:47]


/* iter 3 */

/*  grEndMfmaIndex:5, lwStartMfmaIndex:7, lwEndMfmaIndex:29  */
/*  numMfmaForLR:1, barrierMfmaIndex:30, LocalWritePerMfma:0.700 */
/*  mfmaIndex:12  */
/* sched write - iter 3 writesPerItem=1 */
s_waitcnt vmcnt(0)                                 // lgkmcnt=-1 vmcnt=0wait for global read before writing to local
_ds_store_b32 v[vgprLocalWriteAddrA], v[vgprG2LA+4] offset:4224 // lwoA_0_0_4_0 = (0*LSCA)*(MT0I+PAD) + (4*LSPA) = 4224
v_mfma_f32_32x32x2f32 a[0+0:15+0], v[vgprValuB_X3_I0+0+0+0], v[vgprValuA_X3_I0+0+0+0], a[0:15]
/*  mfmaIndex:13  */
v_mfma_f32_32x32x2f32 a[16+0:31+0], v[vgprValuB_X3_I0+0+0+0], v[vgprValuA_X3_I0+1+0+0], a[16:31]
/*  mfmaIndex:14  */
/* sched write - iter 3 writesPerItem=1 */
s_waitcnt vmcnt(0)                                 // lgkmcnt=-1 vmcnt=0wait for global read before writing to local
_ds_store_b32 v[vgprLocalWriteAddrA], v[vgprG2LA+5] offset:5280 // lwoA_0_0_5_0 = (0*LSCA)*(MT0I+PAD) + (5*LSPA) = 5280
v_mfma_f32_32x32x2f32 a[48+0:63+0], v[vgprValuB_X3_I0+1+0+0], v[vgprValuA_X3_I0+1+0+0], a[48:63]
/*  mfmaIndex:15  */
/* sched write - iter 3 writesPerItem=1 */
s_waitcnt vmcnt(0)                                 // lgkmcnt=-1 vmcnt=0wait for global read before writing to local
_ds_store_b32 v[vgprLocalWriteAddrA], v[vgprG2LA+6] offset:6336 // lwoA_0_0_6_0 = (0*LSCA)*(MT0I+PAD) + (6*LSPA) = 6336
v_mfma_f32_32x32x2f32 a[32+0:47+0], v[vgprValuB_X3_I0+1+0+0], v[vgprValuA_X3_I0+0+0+0], a[32:47]


/* iter 4 */

/*  grEndMfmaIndex:5, lwStartMfmaIndex:7, lwEndMfmaIndex:29  */
/*  numMfmaForLR:1, barrierMfmaIndex:30, LocalWritePerMfma:0.700 */
/*  mfmaIndex:16  */
v_mfma_f32_32x32x2f32 a[0+0:15+0], v[vgprValuB_X4_I0+0+0+0], v[vgprValuA_X4_I0+0+0+0], a[0:15]
/*  mfmaIndex:17  */
/* sched write - iter 4 writesPerItem=1 */
s_waitcnt vmcnt(0)                                 // lgkmcnt=-1 vmcnt=0wait for global read before writing to local
_ds_store_b32 v[vgprLocalWriteAddrA], v[vgprG2LA+7] offset:7392 // lwoA_0_0_7_0 = (0*LSCA)*(MT0I+PAD) + (7*LSPA) = 7392
v_mfma_f32_32x32x2f32 a[16+0:31+0], v[vgprValuB_X4_I0+0+0+0], v[vgprValuA_X4_I0+1+0+0], a[16:31]
/*  mfmaIndex:18  */
/* sched write - iter 4 writesPerItem=1 */
s_waitcnt vmcnt(0)                                 // lgkmcnt=-1 vmcnt=0wait for global read before writing to local
_ds_store_b32 v[vgprLocalWriteAddrB], v[vgprG2LB+0] offset:0 // lwoB_0_0_0_0 = (0*LSCB)*(MT1J+PAD) + (0*LSPB) = 0
v_mfma_f32_32x32x2f32 a[48+0:63+0], v[vgprValuB_X4_I0+1+0+0], v[vgprValuA_X4_I0+1+0+0], a[48:63]
/*  mfmaIndex:19  */
/* sched write - iter 4 writesPerItem=1 */
s_waitcnt vmcnt(0)                                 // lgkmcnt=-1 vmcnt=0wait for global read before writing to local
_ds_store_b32 v[vgprLocalWriteAddrB], v[vgprG2LB+1] offset:1056 // lwoB_0_0_1_0 = (0*LSCB)*(MT1J+PAD) + (1*LSPB) = 1056
v_mfma_f32_32x32x2f32 a[32+0:47+0], v[vgprValuB_X4_I0+1+0+0], v[vgprValuA_X4_I0+0+0+0], a[32:47]


/* iter 5 */

/*  grEndMfmaIndex:5, lwStartMfmaIndex:7, lwEndMfmaIndex:29  */
/*  numMfmaForLR:1, barrierMfmaIndex:30, LocalWritePerMfma:0.700 */
/*  mfmaIndex:20  */
v_mfma_f32_32x32x2f32 a[0+0:15+0], v[vgprValuB_X5_I0+0+0+0], v[vgprValuA_X5_I0+0+0+0], a[0:15]
/*  mfmaIndex:21  */
/* sched write - iter 5 writesPerItem=1 */
s_waitcnt vmcnt(0)                                 // lgkmcnt=-1 vmcnt=0wait for global read before writing to local
_ds_store_b32 v[vgprLocalWriteAddrB], v[vgprG2LB+2] offset:2112 // lwoB_0_0_2_0 = (0*LSCB)*(MT1J+PAD) + (2*LSPB) = 2112
v_mfma_f32_32x32x2f32 a[16+0:31+0], v[vgprValuB_X5_I0+0+0+0], v[vgprValuA_X5_I0+1+0+0], a[16:31]
/*  mfmaIndex:22  */
/* sched write - iter 5 writesPerItem=1 */
s_waitcnt vmcnt(0)                                 // lgkmcnt=-1 vmcnt=0wait for global read before writing to local
_ds_store_b32 v[vgprLocalWriteAddrB], v[vgprG2LB+3] offset:3168 // lwoB_0_0_3_0 = (0*LSCB)*(MT1J+PAD) + (3*LSPB) = 3168
v_mfma_f32_32x32x2f32 a[48+0:63+0], v[vgprValuB_X5_I0+1+0+0], v[vgprValuA_X5_I0+1+0+0], a[48:63]
/*  mfmaIndex:23  */
v_mfma_f32_32x32x2f32 a[32+0:47+0], v[vgprValuB_X5_I0+1+0+0], v[vgprValuA_X5_I0+0+0+0], a[32:47]


/* iter 6 (reset local read pointers iteration)  (swap local read pointers iteration)  */

/*  grEndMfmaIndex:5, lwStartMfmaIndex:7, lwEndMfmaIndex:29  */
/*  numMfmaForLR:1, barrierMfmaIndex:30, LocalWritePerMfma:0.700 */
/*  mfmaIndex:24  */
/* sched write - iter 6 writesPerItem=1 */
s_waitcnt vmcnt(0)                                 // lgkmcnt=-1 vmcnt=0wait for global read before writing to local
_ds_store_b32 v[vgprLocalWriteAddrB], v[vgprG2LB+4] offset:4224 // lwoB_0_0_4_0 = (0*LSCB)*(MT1J+PAD) + (4*LSPB) = 4224
v_mfma_f32_32x32x2f32 a[0+0:15+0], v[vgprValuB_X6_I0+0+0+0], v[vgprValuA_X6_I0+0+0+0], a[0:15]
/*  mfmaIndex:25  */
/* sched write - iter 6 writesPerItem=1 */
s_waitcnt vmcnt(0)                                 // lgkmcnt=-1 vmcnt=0wait for global read before writing to local
_ds_store_b32 v[vgprLocalWriteAddrB], v[vgprG2LB+5] offset:5280 // lwoB_0_0_5_0 = (0*LSCB)*(MT1J+PAD) + (5*LSPB) = 5280
v_mfma_f32_32x32x2f32 a[16+0:31+0], v[vgprValuB_X6_I0+0+0+0], v[vgprValuA_X6_I0+1+0+0], a[16:31]
/*  mfmaIndex:26  */
v_mfma_f32_32x32x2f32 a[48+0:63+0], v[vgprValuB_X6_I0+1+0+0], v[vgprValuA_X6_I0+1+0+0], a[48:63]
/*  mfmaIndex:27  */
/* sched write - iter 6 writesPerItem=1 */
s_waitcnt vmcnt(0)                                 // lgkmcnt=-1 vmcnt=0wait for global read before writing to local
_ds_store_b32 v[vgprLocalWriteAddrB], v[vgprG2LB+6] offset:6336 // lwoB_0_0_6_0 = (0*LSCB)*(MT1J+PAD) + (6*LSPB) = 6336

/* local read swap offsets a */

/* local read swap offsets b */

/* local read init pointers a */

/* localReadInitPointers */

/* local read init pointers b */

/* localReadInitPointers */
v_mfma_f32_32x32x2f32 a[32+0:47+0], v[vgprValuB_X6_I0+1+0+0], v[vgprValuA_X6_I0+0+0+0], a[32:47]


/* iter 7 (swap and reset local write pointers iteration)  */

/*  grEndMfmaIndex:5, lwStartMfmaIndex:7, lwEndMfmaIndex:29  */
/*  numMfmaForLR:1, barrierMfmaIndex:30, LocalWritePerMfma:0.700 */
/*  mfmaIndex:28  */
/* sched write - iter 7 writesPerItem=1 */
s_waitcnt vmcnt(0)                                 // lgkmcnt=-1 vmcnt=0wait for global read before writing to local
_ds_store_b32 v[vgprLocalWriteAddrB], v[vgprG2LB+7] offset:7392 // lwoB_0_0_7_0 = (0*LSCB)*(MT1J+PAD) + (7*LSPB) = 7392
v_mfma_f32_32x32x2f32 a[0+0:15+0], v[vgprValuB_X7_I0+0+0+0], v[vgprValuA_X7_I0+0+0+0], a[0:15]
/*  mfmaIndex:29  */

/* local write swap offsets a */

/* local write swap offsets b */
v_mfma_f32_32x32x2f32 a[16+0:31+0], v[vgprValuB_X7_I0+0+0+0], v[vgprValuA_X7_I0+1+0+0], a[16:31]
/*  mfmaIndex:30  */
s_waitcnt lgkmcnt(0)                               // lgkmcnt=0 vmcnt=-13wait for local write
// Skip force waitcnt0
s_barrier //
v_mfma_f32_32x32x2f32 a[48+0:63+0], v[vgprValuB_X7_I0+1+0+0], v[vgprValuA_X7_I0+1+0+0], a[48:63]
/*  mfmaIndex:31  */
_ds_load_b32 v[vgprValuA_X0_I0+0], v[vgprLocalReadAddrA] offset:0 // L -> Reg lro=0 swapByteOffset=0 ti=64 vIdx=0 rIdx=0 oIdx=0 buffer=0 iui=0
_ds_load_b32 v[vgprValuB_X0_I0+0], v[vgprLocalReadAddrB] offset:0 // L -> Reg lro=0 swapByteOffset=0 ti=64 vIdx=0 rIdx=0 oIdx=0 buffer=0 iui=0
_ds_load_b32 v[vgprValuA_X0_I0+1], v[vgprLocalReadAddrA] offset:4224 // L -> Reg lro=0 swapByteOffset=0 ti=64 vIdx=1 rIdx=0 oIdx=0 buffer=0 iui=0
_ds_load_b32 v[vgprValuB_X0_I0+1], v[vgprLocalReadAddrB] offset:4224 // L -> Reg lro=0 swapByteOffset=0 ti=64 vIdx=1 rIdx=0 oIdx=0 buffer=0 iui=0
v_mfma_f32_32x32x2f32 a[32+0:47+0], v[vgprValuB_X7_I0+1+0+0], v[vgprValuA_X7_I0+0+0+0], a[32:47]

label_0014:


/******************************************/
/* Ord. NoLoadLoop - Begin                                      */
/******************************************/


	;; [unrolled: 1-line block ×4, first 2 shown]
/* iter 0 (last unrolled loop) */

/*  grEndMfmaIndex:0, lwStartMfmaIndex:29, lwEndMfmaIndex:29  */
/*  numMfmaForLR:1, barrierMfmaIndex:30, LocalWritePerMfma:0.700 */
/*  mfmaIndex:0  */
s_waitcnt lgkmcnt(0)                               // lgkmcnt=0 vmcnt=-1wait for prior local read local write old=0, new=0 newLW=0 newLR=0
v_mfma_f32_32x32x2f32 a[0+0:15+0], v[vgprValuB_X0_I0+0+0+0], v[vgprValuA_X0_I0+0+0+0], a[0:15]
/*  mfmaIndex:1  */
_ds_load_b32 v[vgprValuA_X1_I0+0], v[vgprLocalReadAddrA] offset:8 // L -> Reg lro=2 swapByteOffset=0 ti=64 vIdx=0 rIdx=0 oIdx=0 buffer=1 iui=0
_ds_load_b32 v[vgprValuB_X1_I0+0], v[vgprLocalReadAddrB] offset:8 // L -> Reg lro=2 swapByteOffset=0 ti=64 vIdx=0 rIdx=0 oIdx=0 buffer=1 iui=0
_ds_load_b32 v[vgprValuA_X1_I0+1], v[vgprLocalReadAddrA] offset:4232 // L -> Reg lro=2 swapByteOffset=0 ti=64 vIdx=1 rIdx=0 oIdx=0 buffer=1 iui=0
_ds_load_b32 v[vgprValuB_X1_I0+1], v[vgprLocalReadAddrB] offset:4232 // L -> Reg lro=2 swapByteOffset=0 ti=64 vIdx=1 rIdx=0 oIdx=0 buffer=1 iui=0
/* localReadsVacancy: latencyLeft 5 */
_ds_load_b32 v[vgprValuA_X2_I0+0], v[vgprLocalReadAddrA] offset:16 // L -> Reg lro=4 swapByteOffset=0 ti=64 vIdx=0 rIdx=0 oIdx=0 buffer=2 iui=0
_ds_load_b32 v[vgprValuB_X2_I0+0], v[vgprLocalReadAddrB] offset:16 // L -> Reg lro=4 swapByteOffset=0 ti=64 vIdx=0 rIdx=0 oIdx=0 buffer=2 iui=0
v_mfma_f32_32x32x2f32 a[16+0:31+0], v[vgprValuB_X0_I0+0+0+0], v[vgprValuA_X0_I0+1+0+0], a[16:31]
/*  mfmaIndex:2  */
/* localReadsVacancy: latencyLeft 13 */
_ds_load_b32 v[vgprValuA_X2_I0+1], v[vgprLocalReadAddrA] offset:4240 // L -> Reg lro=4 swapByteOffset=0 ti=64 vIdx=1 rIdx=0 oIdx=0 buffer=2 iui=0
_ds_load_b32 v[vgprValuB_X2_I0+1], v[vgprLocalReadAddrB] offset:4240 // L -> Reg lro=4 swapByteOffset=0 ti=64 vIdx=1 rIdx=0 oIdx=0 buffer=2 iui=0
_ds_load_b32 v[vgprValuA_X3_I0+0], v[vgprLocalReadAddrA] offset:24 // L -> Reg lro=6 swapByteOffset=0 ti=64 vIdx=0 rIdx=0 oIdx=0 buffer=3 iui=0
_ds_load_b32 v[vgprValuB_X3_I0+0], v[vgprLocalReadAddrB] offset:24 // L -> Reg lro=6 swapByteOffset=0 ti=64 vIdx=0 rIdx=0 oIdx=0 buffer=3 iui=0
_ds_load_b32 v[vgprValuA_X3_I0+1], v[vgprLocalReadAddrA] offset:4248 // L -> Reg lro=6 swapByteOffset=0 ti=64 vIdx=1 rIdx=0 oIdx=0 buffer=3 iui=0
_ds_load_b32 v[vgprValuB_X3_I0+1], v[vgprLocalReadAddrB] offset:4248 // L -> Reg lro=6 swapByteOffset=0 ti=64 vIdx=1 rIdx=0 oIdx=0 buffer=3 iui=0
v_mfma_f32_32x32x2f32 a[48+0:63+0], v[vgprValuB_X0_I0+1+0+0], v[vgprValuA_X0_I0+1+0+0], a[48:63]
/*  mfmaIndex:3  */
/* localReadsVacancy: latencyLeft 13 */
_ds_load_b32 v[vgprValuA_X4_I0+0], v[vgprLocalReadAddrA] offset:32 // L -> Reg lro=8 swapByteOffset=0 ti=64 vIdx=0 rIdx=0 oIdx=0 buffer=4 iui=0
_ds_load_b32 v[vgprValuB_X4_I0+0], v[vgprLocalReadAddrB] offset:32 // L -> Reg lro=8 swapByteOffset=0 ti=64 vIdx=0 rIdx=0 oIdx=0 buffer=4 iui=0
_ds_load_b32 v[vgprValuA_X4_I0+1], v[vgprLocalReadAddrA] offset:4256 // L -> Reg lro=8 swapByteOffset=0 ti=64 vIdx=1 rIdx=0 oIdx=0 buffer=4 iui=0
_ds_load_b32 v[vgprValuB_X4_I0+1], v[vgprLocalReadAddrB] offset:4256 // L -> Reg lro=8 swapByteOffset=0 ti=64 vIdx=1 rIdx=0 oIdx=0 buffer=4 iui=0
_ds_load_b32 v[vgprValuA_X5_I0+0], v[vgprLocalReadAddrA] offset:40 // L -> Reg lro=10 swapByteOffset=0 ti=64 vIdx=0 rIdx=0 oIdx=0 buffer=5 iui=0
_ds_load_b32 v[vgprValuB_X5_I0+0], v[vgprLocalReadAddrB] offset:40 // L -> Reg lro=10 swapByteOffset=0 ti=64 vIdx=0 rIdx=0 oIdx=0 buffer=5 iui=0
v_mfma_f32_32x32x2f32 a[32+0:47+0], v[vgprValuB_X0_I0+1+0+0], v[vgprValuA_X0_I0+0+0+0], a[32:47]
/* numPrefetchIter=0 */
/* dataAtIterA=-1 numReadsIterA=1 skipReadsIterA=1 readsPerIterA=2 */
/* dataAtIterB=-1 numReadsIterB=1 skipReadsIterB=1 readsPerIterB=2 */


/* iter 1 (last unrolled loop) */

/*  grEndMfmaIndex:0, lwStartMfmaIndex:29, lwEndMfmaIndex:29  */
/*  numMfmaForLR:1, barrierMfmaIndex:30, LocalWritePerMfma:0.700 */
/*  mfmaIndex:4  */
/* localReadsVacancy: latencyLeft 13 */
_ds_load_b32 v[vgprValuA_X5_I0+1], v[vgprLocalReadAddrA] offset:4264 // L -> Reg lro=10 swapByteOffset=0 ti=64 vIdx=1 rIdx=0 oIdx=0 buffer=5 iui=0
_ds_load_b32 v[vgprValuB_X5_I0+1], v[vgprLocalReadAddrB] offset:4264 // L -> Reg lro=10 swapByteOffset=0 ti=64 vIdx=1 rIdx=0 oIdx=0 buffer=5 iui=0
_ds_load_b32 v[vgprValuA_X6_I0+0], v[vgprLocalReadAddrA] offset:48 // L -> Reg lro=12 swapByteOffset=0 ti=64 vIdx=0 rIdx=0 oIdx=0 buffer=6 iui=0
_ds_load_b32 v[vgprValuB_X6_I0+0], v[vgprLocalReadAddrB] offset:48 // L -> Reg lro=12 swapByteOffset=0 ti=64 vIdx=0 rIdx=0 oIdx=0 buffer=6 iui=0
_ds_load_b32 v[vgprValuA_X6_I0+1], v[vgprLocalReadAddrA] offset:4272 // L -> Reg lro=12 swapByteOffset=0 ti=64 vIdx=1 rIdx=0 oIdx=0 buffer=6 iui=0
_ds_load_b32 v[vgprValuB_X6_I0+1], v[vgprLocalReadAddrB] offset:4272 // L -> Reg lro=12 swapByteOffset=0 ti=64 vIdx=1 rIdx=0 oIdx=0 buffer=6 iui=0
s_waitcnt lgkmcnt(15)                              // lgkmcnt=0 vmcnt=-1wait for prior local read local write old=4, new=4 newLW=0 newLR=0
v_mfma_f32_32x32x2f32 a[0+0:15+0], v[vgprValuB_X1_I0+0+0+0], v[vgprValuA_X1_I0+0+0+0], a[0:15]
/*  mfmaIndex:5  */
/* localReadsVacancy: latencyLeft 13 */
_ds_load_b32 v[vgprValuA_X7_I0+0], v[vgprLocalReadAddrA] offset:56 // L -> Reg lro=14 swapByteOffset=0 ti=64 vIdx=0 rIdx=0 oIdx=0 buffer=7 iui=0
_ds_load_b32 v[vgprValuB_X7_I0+0], v[vgprLocalReadAddrB] offset:56 // L -> Reg lro=14 swapByteOffset=0 ti=64 vIdx=0 rIdx=0 oIdx=0 buffer=7 iui=0
_ds_load_b32 v[vgprValuA_X7_I0+1], v[vgprLocalReadAddrA] offset:4280 // L -> Reg lro=14 swapByteOffset=0 ti=64 vIdx=1 rIdx=0 oIdx=0 buffer=7 iui=0
_ds_load_b32 v[vgprValuB_X7_I0+1], v[vgprLocalReadAddrB] offset:4280 // L -> Reg lro=14 swapByteOffset=0 ti=64 vIdx=1 rIdx=0 oIdx=0 buffer=7 iui=0
v_mfma_f32_32x32x2f32 a[16+0:31+0], v[vgprValuB_X1_I0+0+0+0], v[vgprValuA_X1_I0+1+0+0], a[16:31]
/*  mfmaIndex:6  */
/* localReadsVacancy: latencyLeft 13 */
v_mfma_f32_32x32x2f32 a[48+0:63+0], v[vgprValuB_X1_I0+1+0+0], v[vgprValuA_X1_I0+1+0+0], a[48:63]
/*  mfmaIndex:7  */
/* localReadsVacancy: latencyLeft 13 */
v_mfma_f32_32x32x2f32 a[32+0:47+0], v[vgprValuB_X1_I0+1+0+0], v[vgprValuA_X1_I0+0+0+0], a[32:47]
/* numPrefetchIter=0 */
/* dataAtIterA=0 numReadsIterA=2 skipReadsIterA=1 readsPerIterA=2 */
/* dataAtIterB=0 numReadsIterB=2 skipReadsIterB=1 readsPerIterB=2 */


/* iter 2 (last unrolled loop) */

/*  grEndMfmaIndex:0, lwStartMfmaIndex:29, lwEndMfmaIndex:29  */
/*  numMfmaForLR:1, barrierMfmaIndex:30, LocalWritePerMfma:0.700 */
/*  mfmaIndex:8  */
/* localReadsVacancy: latencyLeft 13 */
s_waitcnt lgkmcnt(10)                              // lgkmcnt=0 vmcnt=-1wait for prior local read local write old=0, new=0 newLW=0 newLR=0
v_mfma_f32_32x32x2f32 a[0+0:15+0], v[vgprValuB_X2_I0+0+0+0], v[vgprValuA_X2_I0+0+0+0], a[0:15]
/*  mfmaIndex:9  */
/* localReadsVacancy: latencyLeft 13 */
v_mfma_f32_32x32x2f32 a[16+0:31+0], v[vgprValuB_X2_I0+0+0+0], v[vgprValuA_X2_I0+1+0+0], a[16:31]
/*  mfmaIndex:10  */
/* localReadsVacancy: latencyLeft 13 */
	;; [unrolled: 3-line block ×3, first 2 shown]
v_mfma_f32_32x32x2f32 a[32+0:47+0], v[vgprValuB_X2_I0+1+0+0], v[vgprValuA_X2_I0+0+0+0], a[32:47]
/* numPrefetchIter=0 */
/* dataAtIterA=1 numReadsIterA=3 skipReadsIterA=1 readsPerIterA=2 */
/* dataAtIterB=1 numReadsIterB=3 skipReadsIterB=1 readsPerIterB=2 */


/* iter 3 (last unrolled loop) */

/*  grEndMfmaIndex:0, lwStartMfmaIndex:29, lwEndMfmaIndex:29  */
/*  numMfmaForLR:1, barrierMfmaIndex:30, LocalWritePerMfma:0.700 */
/*  mfmaIndex:12  */
/* localReadsVacancy: latencyLeft 13 */
s_waitcnt lgkmcnt(10)                              // lgkmcnt=0 vmcnt=-1wait for prior local read local write old=0, new=0 newLW=0 newLR=0
v_mfma_f32_32x32x2f32 a[0+0:15+0], v[vgprValuB_X3_I0+0+0+0], v[vgprValuA_X3_I0+0+0+0], a[0:15]
/*  mfmaIndex:13  */
/* localReadsVacancy: latencyLeft 13 */
v_mfma_f32_32x32x2f32 a[16+0:31+0], v[vgprValuB_X3_I0+0+0+0], v[vgprValuA_X3_I0+1+0+0], a[16:31]
/*  mfmaIndex:14  */
/* localReadsVacancy: latencyLeft 13 */
	;; [unrolled: 3-line block ×3, first 2 shown]
v_mfma_f32_32x32x2f32 a[32+0:47+0], v[vgprValuB_X3_I0+1+0+0], v[vgprValuA_X3_I0+0+0+0], a[32:47]
/* numPrefetchIter=0 */
/* dataAtIterA=2 numReadsIterA=4 skipReadsIterA=1 readsPerIterA=2 */
/* dataAtIterB=2 numReadsIterB=4 skipReadsIterB=1 readsPerIterB=2 */


/* iter 4 (last unrolled loop) */

/*  grEndMfmaIndex:0, lwStartMfmaIndex:29, lwEndMfmaIndex:29  */
/*  numMfmaForLR:1, barrierMfmaIndex:30, LocalWritePerMfma:0.700 */
/*  mfmaIndex:16  */
/* localReadsVacancy: latencyLeft 13 */
s_waitcnt lgkmcnt(10)                              // lgkmcnt=0 vmcnt=-1wait for prior local read local write old=2, new=2 newLW=0 newLR=0
v_mfma_f32_32x32x2f32 a[0+0:15+0], v[vgprValuB_X4_I0+0+0+0], v[vgprValuA_X4_I0+0+0+0], a[0:15]
/*  mfmaIndex:17  */
/* localReadsVacancy: latencyLeft 13 */
v_mfma_f32_32x32x2f32 a[16+0:31+0], v[vgprValuB_X4_I0+0+0+0], v[vgprValuA_X4_I0+1+0+0], a[16:31]
/*  mfmaIndex:18  */
/* localReadsVacancy: latencyLeft 13 */
	;; [unrolled: 3-line block ×3, first 2 shown]
v_mfma_f32_32x32x2f32 a[32+0:47+0], v[vgprValuB_X4_I0+1+0+0], v[vgprValuA_X4_I0+0+0+0], a[32:47]
/* numPrefetchIter=0 */
/* dataAtIterA=3 numReadsIterA=5 skipReadsIterA=1 readsPerIterA=2 */
/* dataAtIterB=3 numReadsIterB=5 skipReadsIterB=1 readsPerIterB=2 */


/* iter 5 (last unrolled loop) */

/*  grEndMfmaIndex:0, lwStartMfmaIndex:29, lwEndMfmaIndex:29  */
/*  numMfmaForLR:1, barrierMfmaIndex:30, LocalWritePerMfma:0.700 */
/*  mfmaIndex:20  */
/* localReadsVacancy: latencyLeft 13 */
s_waitcnt lgkmcnt(8)                               // lgkmcnt=0 vmcnt=-1wait for prior local read local write old=4, new=4 newLW=0 newLR=0
v_mfma_f32_32x32x2f32 a[0+0:15+0], v[vgprValuB_X5_I0+0+0+0], v[vgprValuA_X5_I0+0+0+0], a[0:15]
/*  mfmaIndex:21  */
/* localReadsVacancy: latencyLeft 13 */
v_mfma_f32_32x32x2f32 a[16+0:31+0], v[vgprValuB_X5_I0+0+0+0], v[vgprValuA_X5_I0+1+0+0], a[16:31]
/*  mfmaIndex:22  */
/* localReadsVacancy: latencyLeft 13 */
	;; [unrolled: 3-line block ×3, first 2 shown]
v_mfma_f32_32x32x2f32 a[32+0:47+0], v[vgprValuB_X5_I0+1+0+0], v[vgprValuA_X5_I0+0+0+0], a[32:47]
/* numPrefetchIter=0 */
/* dataAtIterA=4 numReadsIterA=6 skipReadsIterA=1 readsPerIterA=2 */
/* dataAtIterB=4 numReadsIterB=6 skipReadsIterB=1 readsPerIterB=2 */


/* iter 6 (last unrolled loop) */

/*  grEndMfmaIndex:0, lwStartMfmaIndex:29, lwEndMfmaIndex:29  */
/*  numMfmaForLR:1, barrierMfmaIndex:30, LocalWritePerMfma:0.700 */
/*  mfmaIndex:24  */
/* localReadsVacancy: latencyLeft 13 */
s_waitcnt lgkmcnt(4)                               // lgkmcnt=0 vmcnt=-1wait for prior local read local write old=4, new=4 newLW=0 newLR=0
v_mfma_f32_32x32x2f32 a[0+0:15+0], v[vgprValuB_X6_I0+0+0+0], v[vgprValuA_X6_I0+0+0+0], a[0:15]
/*  mfmaIndex:25  */
/* localReadsVacancy: latencyLeft 13 */
v_mfma_f32_32x32x2f32 a[16+0:31+0], v[vgprValuB_X6_I0+0+0+0], v[vgprValuA_X6_I0+1+0+0], a[16:31]
/*  mfmaIndex:26  */
/* localReadsVacancy: latencyLeft 13 */
	;; [unrolled: 3-line block ×3, first 2 shown]
v_mfma_f32_32x32x2f32 a[32+0:47+0], v[vgprValuB_X6_I0+1+0+0], v[vgprValuA_X6_I0+0+0+0], a[32:47]
/* numPrefetchIter=0 */
/* dataAtIterA=5 numReadsIterA=7 skipReadsIterA=1 readsPerIterA=2 */
/* dataAtIterB=5 numReadsIterB=7 skipReadsIterB=1 readsPerIterB=2 */


/* iter 7 (last unrolled loop) */

/*  grEndMfmaIndex:0, lwStartMfmaIndex:29, lwEndMfmaIndex:29  */
/*  numMfmaForLR:1, barrierMfmaIndex:30, LocalWritePerMfma:0.700 */
/*  mfmaIndex:28  */
/* 1 LDS buffer: read-sync-write */
s_waitcnt lgkmcnt(0)                               // 
s_barrier                                          // 
s_waitcnt lgkmcnt(0)                               // lgkmcnt=0 vmcnt=-1wait for prior local read local write old=0, new=0 newLW=0 newLR=0
v_mfma_f32_32x32x2f32 a[0+0:15+0], v[vgprValuB_X7_I0+0+0+0], v[vgprValuA_X7_I0+0+0+0], a[0:15]
/*  mfmaIndex:29  */
v_mfma_f32_32x32x2f32 a[16+0:31+0], v[vgprValuB_X7_I0+0+0+0], v[vgprValuA_X7_I0+1+0+0], a[16:31]
/*  mfmaIndex:30  */
	;; [unrolled: 2-line block ×3, first 2 shown]
v_mfma_f32_32x32x2f32 a[32+0:47+0], v[vgprValuB_X7_I0+1+0+0], v[vgprValuA_X7_I0+0+0+0], a[32:47]
/* numPrefetchIter=0 */
/* dataAtIterA=6 numReadsIterA=7 skipReadsIterA=0 readsPerIterA=2 */
/* dataAtIterB=6 numReadsIterB=7 skipReadsIterB=0 readsPerIterB=2 */

PrefetchGlobalLastIterEnd_5:


/******************************************/
/* Tail Loop                              */
/******************************************/


/* local write reset offsets a */


	;; [unrolled: 1-line block ×3, first 2 shown]
/* local write reset offsets b */


	;; [unrolled: 1-line block ×3, first 2 shown]
//numIterL = (((sizeL % LOCAL_DEPTHU) + LOCAL_SPLITU - 1) / LOCAL_SPLITU)
s_and_b32 s[sgprLoopCounterL], 15, s[sgprSizesSum+0] // s[sgprLoopCounterL] = s[sgprSizesSum+0] % 16
s_cmp_eq_u32 s[sgprLoopCounterL], 0x0              // numIterL == 0
s_cbranch_scc1 SkipTailLoopL_8                     // skip to end of tail loop b/c numIter==0
s_mov_b32 s[sgprOrigLoopCounter], 0                // repurpose to count each localRead increment


/* Update M0 for DTLDS */


	;; [unrolled: 1-line block ×3, first 2 shown]
/* global read a */

/* global addressing - max read address = Tensor2dSizeA */
s_mul_hi_u32 s1, s[sgprWorkGroup2], s[sgprStrideAK] // 64b tensorA size in elements
s_mul_i32 s0, s[sgprWorkGroup2], s[sgprStrideAK]   // 64b tensorA size in elements
s_add_u32 s0, s[sgprTensor2dSizeA], s0             // add Tensor2dSizeA
s_addc_u32 s1, s[sgprTensor2dSizeA+1], s1          // add Tensor2dSizeA
s_lshl_b64 s[0:1], s[0:1], 0x2                     // <- tensorA size in bytes
s_add_u32 s0, s16, s0                              // prepend address lower
s_addc_u32 s1, s17, s1                             // prepend address upper
v_mov_b32 v90, s0                                  // sgpr->vgpr
v_mov_b32 v91, s1                                  // sgpr->vgpr
s_mov_b64 s[0:1], 0xFFFFFFFFFFFFFFFF               // to restore all threads active
v_mov_b32 v89, 0x4                                 // bpe*numElementsPerLoad
v_mov_b32 v92, 0x0                                 // zero
/* g2l=0, load component 0 */
_v_cmpx_lt_u64 vcc, v[vgprGlobalReadAddrA+0:vgprGlobalReadAddrA+0+1], v[90:91] // addr < maxAddr
_global_load_b32 v[vgprG2LA+0+0], v[vgprGlobalReadAddrA+0:vgprGlobalReadAddrA+0+1], off, offset:0 // load one global value
s_or_saveexec_b64 vcc, s[0:1]                      // all threads active
_v_add_co_u32 v[vgprGlobalReadAddrA+0+0], vcc, v[vgprGlobalReadAddrA+0+0], v89 // gra += 1 (lower)
_v_addc_co_u32 v[vgprGlobalReadAddrA+0+1], vcc, v[vgprGlobalReadAddrA+0+1], v92, vcc // gra += 1 (upper)
/* g2l=1, load component 0 */
_v_cmpx_lt_u64 vcc, v[vgprGlobalReadAddrA+2:vgprGlobalReadAddrA+2+1], v[90:91] // addr < maxAddr
_global_load_b32 v[vgprG2LA+1+0], v[vgprGlobalReadAddrA+2:vgprGlobalReadAddrA+2+1], off, offset:0 // load one global value
s_or_saveexec_b64 vcc, s[0:1]                      // all threads active
_v_add_co_u32 v[vgprGlobalReadAddrA+2+0], vcc, v[vgprGlobalReadAddrA+2+0], v89 // gra += 1 (lower)
_v_addc_co_u32 v[vgprGlobalReadAddrA+2+1], vcc, v[vgprGlobalReadAddrA+2+1], v92, vcc // gra += 1 (upper)
	;; [unrolled: 6-line block ×8, first 2 shown]


/* Update M0 for DTLDS */


	;; [unrolled: 1-line block ×3, first 2 shown]
/* global read b */

/* global addressing - max read address = Tensor2dSizeB */
s_mul_hi_u32 s1, s[sgprWorkGroup2], s[sgprStrideBK] // 64b tensorB size in elements
s_mul_i32 s0, s[sgprWorkGroup2], s[sgprStrideBK]   // 64b tensorB size in elements
s_add_u32 s0, s[sgprTensor2dSizeB], s0             // add Tensor2dSizeB
s_addc_u32 s1, s[sgprTensor2dSizeB+1], s1          // add Tensor2dSizeB
s_lshl_b64 s[0:1], s[0:1], 0x2                     // <- tensorB size in bytes
s_add_u32 s0, s18, s0                              // prepend address lower
s_addc_u32 s1, s19, s1                             // prepend address upper
v_mov_b32 v90, s0                                  // sgpr->vgpr
v_mov_b32 v91, s1                                  // sgpr->vgpr
s_mov_b64 s[0:1], 0xFFFFFFFFFFFFFFFF               // to restore all threads active
v_mov_b32 v89, 0x4                                 // bpe*numElementsPerLoad
v_mov_b32 v92, 0x0                                 // zero
/* g2l=0, load component 0 */
_v_cmpx_lt_u64 vcc, v[vgprGlobalReadAddrB+0:vgprGlobalReadAddrB+0+1], v[90:91] // addr < maxAddr
_global_load_b32 v[vgprG2LB+0+0], v[vgprGlobalReadAddrB+0:vgprGlobalReadAddrB+0+1], off, offset:0 // load one global value
s_or_saveexec_b64 vcc, s[0:1]                      // all threads active
_v_add_co_u32 v[vgprGlobalReadAddrB+0+0], vcc, v[vgprGlobalReadAddrB+0+0], v89 // gra += 1 (lower)
_v_addc_co_u32 v[vgprGlobalReadAddrB+0+1], vcc, v[vgprGlobalReadAddrB+0+1], v92, vcc // gra += 1 (upper)
/* g2l=1, load component 0 */
_v_cmpx_lt_u64 vcc, v[vgprGlobalReadAddrB+2:vgprGlobalReadAddrB+2+1], v[90:91] // addr < maxAddr
_global_load_b32 v[vgprG2LB+1+0], v[vgprGlobalReadAddrB+2:vgprGlobalReadAddrB+2+1], off, offset:0 // load one global value
s_or_saveexec_b64 vcc, s[0:1]                      // all threads active
_v_add_co_u32 v[vgprGlobalReadAddrB+2+0], vcc, v[vgprGlobalReadAddrB+2+0], v89 // gra += 1 (lower)
_v_addc_co_u32 v[vgprGlobalReadAddrB+2+1], vcc, v[vgprGlobalReadAddrB+2+1], v92, vcc // gra += 1 (upper)
	;; [unrolled: 6-line block ×8, first 2 shown]

s_waitcnt vmcnt(0)                                 // lgkmcnt=-1 vmcnt=02wait for global read

// Skip force waitcnt0
s_barrier //


/* Done global A/B reads */




/* local write a */

_ds_store_b32 v[vgprLocalWriteAddrA], v[vgprG2LA+0] offset:0 // lwoA_0_0_0_0 = (0*LSCA)*(MT0I+PAD) + (0*LSPA) = 0
_ds_store_b32 v[vgprLocalWriteAddrA], v[vgprG2LA+1] offset:1056 // lwoA_0_0_1_0 = (0*LSCA)*(MT0I+PAD) + (1*LSPA) = 1056
_ds_store_b32 v[vgprLocalWriteAddrA], v[vgprG2LA+2] offset:2112 // lwoA_0_0_2_0 = (0*LSCA)*(MT0I+PAD) + (2*LSPA) = 2112
_ds_store_b32 v[vgprLocalWriteAddrA], v[vgprG2LA+3] offset:3168 // lwoA_0_0_3_0 = (0*LSCA)*(MT0I+PAD) + (3*LSPA) = 3168
_ds_store_b32 v[vgprLocalWriteAddrA], v[vgprG2LA+4] offset:4224 // lwoA_0_0_4_0 = (0*LSCA)*(MT0I+PAD) + (4*LSPA) = 4224
_ds_store_b32 v[vgprLocalWriteAddrA], v[vgprG2LA+5] offset:5280 // lwoA_0_0_5_0 = (0*LSCA)*(MT0I+PAD) + (5*LSPA) = 5280
_ds_store_b32 v[vgprLocalWriteAddrA], v[vgprG2LA+6] offset:6336 // lwoA_0_0_6_0 = (0*LSCA)*(MT0I+PAD) + (6*LSPA) = 6336
_ds_store_b32 v[vgprLocalWriteAddrA], v[vgprG2LA+7] offset:7392 // lwoA_0_0_7_0 = (0*LSCA)*(MT0I+PAD) + (7*LSPA) = 7392


/* local write b */

_ds_store_b32 v[vgprLocalWriteAddrB], v[vgprG2LB+0] offset:0 // lwoB_0_0_0_0 = (0*LSCB)*(MT1J+PAD) + (0*LSPB) = 0
_ds_store_b32 v[vgprLocalWriteAddrB], v[vgprG2LB+1] offset:1056 // lwoB_0_0_1_0 = (0*LSCB)*(MT1J+PAD) + (1*LSPB) = 1056
_ds_store_b32 v[vgprLocalWriteAddrB], v[vgprG2LB+2] offset:2112 // lwoB_0_0_2_0 = (0*LSCB)*(MT1J+PAD) + (2*LSPB) = 2112
_ds_store_b32 v[vgprLocalWriteAddrB], v[vgprG2LB+3] offset:3168 // lwoB_0_0_3_0 = (0*LSCB)*(MT1J+PAD) + (3*LSPB) = 3168
_ds_store_b32 v[vgprLocalWriteAddrB], v[vgprG2LB+4] offset:4224 // lwoB_0_0_4_0 = (0*LSCB)*(MT1J+PAD) + (4*LSPB) = 4224
_ds_store_b32 v[vgprLocalWriteAddrB], v[vgprG2LB+5] offset:5280 // lwoB_0_0_5_0 = (0*LSCB)*(MT1J+PAD) + (5*LSPB) = 5280
_ds_store_b32 v[vgprLocalWriteAddrB], v[vgprG2LB+6] offset:6336 // lwoB_0_0_6_0 = (0*LSCB)*(MT1J+PAD) + (6*LSPB) = 6336
_ds_store_b32 v[vgprLocalWriteAddrB], v[vgprG2LB+7] offset:7392 // lwoB_0_0_7_0 = (0*LSCB)*(MT1J+PAD) + (7*LSPB) = 7392


/* Recalc local read offsets */


s_waitcnt lgkmcnt(0)                               // lgkmcnt=0 vmcnt=-15wait for local write

// Skip force waitcnt0
s_barrier //


/* local read reset offsets a */


	;; [unrolled: 1-line block ×3, first 2 shown]
/* local read reset offsets b */


	;; [unrolled: 1-line block ×3, first 2 shown]
/* local read init pointers a */


/* localReadInitPointers */


/* local read init pointers b */


/* localReadInitPointers */


/* tail loop: macs */

TailLoopBeginL_6:


/* tail loop unroll iter 0 */


/* local read a */

_ds_load_b32 v[vgprValuA_X0_I0+0], v[vgprLocalReadAddrA] offset:0 // L -> Reg lro=0 swapByteOffset=0 ti=64 vIdx=0 rIdx=0 oIdx=0 buffer=0 iui=0
_ds_load_b32 v[vgprValuA_X0_I0+1], v[vgprLocalReadAddrA] offset:4224 // L -> Reg lro=0 swapByteOffset=0 ti=64 vIdx=1 rIdx=0 oIdx=0 buffer=0 iui=0


/* local read b */

_ds_load_b32 v[vgprValuB_X0_I0+0], v[vgprLocalReadAddrB] offset:0 // L -> Reg lro=0 swapByteOffset=0 ti=64 vIdx=0 rIdx=0 oIdx=0 buffer=0 iui=0
_ds_load_b32 v[vgprValuB_X0_I0+1], v[vgprLocalReadAddrB] offset:4224 // L -> Reg lro=0 swapByteOffset=0 ti=64 vIdx=1 rIdx=0 oIdx=0 buffer=0 iui=0


/* local read inc a */

s_mov_b32 s0, 0x8                                  // inc
_v_add_co_u32 v[vgprLocalReadAddrA], vcc, s0, v[vgprLocalReadAddrA] // lrA += 8 (LSU*bpe)


/* local read inc b */

s_mov_b32 s0, 0x8                                  // inc
_v_add_co_u32 v[vgprLocalReadAddrB], vcc, s0, v[vgprLocalReadAddrB] // lrB += 8 (LSU*bpe)

s_waitcnt lgkmcnt(0)                               // lgkmcnt=0 vmcnt=-14wait for local read


	;; [unrolled: 1-line block ×3, first 2 shown]
/* tail loop mfma iter 0: numReadsIterCoalescedA=1, numReadsIterCoalescedB=1 */
v_and_b32 v89, 63, v[vgprSerial]                   // v89 = v[vgprSerial] % 64
v_lshrrev_b32 v89, 5, v89                          // v89 = v89 / 32
                                                   // v89 = v89 * 1 (multiplier is 1, do nothing)
v_cmp_ge_i32 s[40:41], v89, s[sgprLoopCounterL]    // check K index >= Size L
v_cndmask_b32 v[vgprValuA_X0_I0+0+0+0+0], v[vgprValuA_X0_I0+0+0+0+0], 0x0, s[40:41] // set 0 if K_idx >= sizeL
v_cndmask_b32 v[vgprValuA_X0_I0+1+0+0+0], v[vgprValuA_X0_I0+1+0+0+0], 0x0, s[40:41] // set 0 if K_idx >= sizeL
v_cndmask_b32 v[vgprValuB_X0_I0+0+0+0+0], v[vgprValuB_X0_I0+0+0+0+0], 0x0, s[40:41] // set 0 if K_idx >= sizeL
v_cndmask_b32 v[vgprValuB_X0_I0+1+0+0+0], v[vgprValuB_X0_I0+1+0+0+0], 0x0, s[40:41] // set 0 if K_idx >= sizeL
s_nop 1
v_mfma_f32_32x32x2f32 a[0+0:15+0], v[vgprValuB_X0_I0+0+0+0], v[vgprValuA_X0_I0+0+0+0], a[0:15]
v_mfma_f32_32x32x2f32 a[16+0:31+0], v[vgprValuB_X0_I0+0+0+0], v[vgprValuA_X0_I0+1+0+0], a[16:31]
	;; [unrolled: 1-line block ×4, first 2 shown]


/* closeLoop loopL finalLoop=0 tailLoop=1 */
s_sub_i32 s[sgprLoopCounterL], s[sgprLoopCounterL], 0x2 // dec counterL (tailLoop)
s_add_u32 s[sgprOrigLoopCounter], s[sgprOrigLoopCounter], 0x2 // inc counterL
s_cmp_le_i32 s[sgprLoopCounterL], 0x0              // counterL<=0
s_cbranch_scc1 TailLoopEndL_7                      // exit LoopL


/* tail loop unroll iter 1 */


/* local read a */

_ds_load_b32 v[vgprValuA_X1_I0+0], v[vgprLocalReadAddrA] offset:0 // L -> Reg lro=0 swapByteOffset=0 ti=64 vIdx=0 rIdx=0 oIdx=0 buffer=1 iui=0
_ds_load_b32 v[vgprValuA_X1_I0+1], v[vgprLocalReadAddrA] offset:4224 // L -> Reg lro=0 swapByteOffset=0 ti=64 vIdx=1 rIdx=0 oIdx=0 buffer=1 iui=0


/* local read b */

_ds_load_b32 v[vgprValuB_X1_I0+0], v[vgprLocalReadAddrB] offset:0 // L -> Reg lro=0 swapByteOffset=0 ti=64 vIdx=0 rIdx=0 oIdx=0 buffer=1 iui=0
_ds_load_b32 v[vgprValuB_X1_I0+1], v[vgprLocalReadAddrB] offset:4224 // L -> Reg lro=0 swapByteOffset=0 ti=64 vIdx=1 rIdx=0 oIdx=0 buffer=1 iui=0


/* local read inc a */

s_mov_b32 s0, 0x8                                  // inc
_v_add_co_u32 v[vgprLocalReadAddrA], vcc, s0, v[vgprLocalReadAddrA] // lrA += 8 (LSU*bpe)


/* local read inc b */

s_mov_b32 s0, 0x8                                  // inc
_v_add_co_u32 v[vgprLocalReadAddrB], vcc, s0, v[vgprLocalReadAddrB] // lrB += 8 (LSU*bpe)

s_waitcnt lgkmcnt(0)                               // lgkmcnt=0 vmcnt=-14wait for local read


	;; [unrolled: 1-line block ×3, first 2 shown]
/* tail loop mfma iter 1: numReadsIterCoalescedA=1, numReadsIterCoalescedB=1 */
v_and_b32 v89, 63, v[vgprSerial]                   // v89 = v[vgprSerial] % 64
v_lshrrev_b32 v89, 5, v89                          // v89 = v89 / 32
                                                   // v89 = v89 * 1 (multiplier is 1, do nothing)
v_cmp_ge_i32 s[40:41], v89, s[sgprLoopCounterL]    // check K index >= Size L
v_cndmask_b32 v[vgprValuA_X1_I0+0+0+0+0], v[vgprValuA_X1_I0+0+0+0+0], 0x0, s[40:41] // set 0 if K_idx >= sizeL
v_cndmask_b32 v[vgprValuA_X1_I0+1+0+0+0], v[vgprValuA_X1_I0+1+0+0+0], 0x0, s[40:41] // set 0 if K_idx >= sizeL
v_cndmask_b32 v[vgprValuB_X1_I0+0+0+0+0], v[vgprValuB_X1_I0+0+0+0+0], 0x0, s[40:41] // set 0 if K_idx >= sizeL
v_cndmask_b32 v[vgprValuB_X1_I0+1+0+0+0], v[vgprValuB_X1_I0+1+0+0+0], 0x0, s[40:41] // set 0 if K_idx >= sizeL
s_nop 1
v_mfma_f32_32x32x2f32 a[0+0:15+0], v[vgprValuB_X1_I0+0+0+0], v[vgprValuA_X1_I0+0+0+0], a[0:15]
v_mfma_f32_32x32x2f32 a[16+0:31+0], v[vgprValuB_X1_I0+0+0+0], v[vgprValuA_X1_I0+1+0+0], a[16:31]
	;; [unrolled: 1-line block ×4, first 2 shown]


/* closeLoop loopL finalLoop=0 tailLoop=1 */
s_sub_i32 s[sgprLoopCounterL], s[sgprLoopCounterL], 0x2 // dec counterL (tailLoop)
s_add_u32 s[sgprOrigLoopCounter], s[sgprOrigLoopCounter], 0x2 // inc counterL
s_cmp_le_i32 s[sgprLoopCounterL], 0x0              // counterL<=0
s_cbranch_scc1 TailLoopEndL_7                      // exit LoopL


/* tail loop unroll iter 2 */


/* local read a */

_ds_load_b32 v[vgprValuA_X2_I0+0], v[vgprLocalReadAddrA] offset:0 // L -> Reg lro=0 swapByteOffset=0 ti=64 vIdx=0 rIdx=0 oIdx=0 buffer=2 iui=0
_ds_load_b32 v[vgprValuA_X2_I0+1], v[vgprLocalReadAddrA] offset:4224 // L -> Reg lro=0 swapByteOffset=0 ti=64 vIdx=1 rIdx=0 oIdx=0 buffer=2 iui=0


/* local read b */

_ds_load_b32 v[vgprValuB_X2_I0+0], v[vgprLocalReadAddrB] offset:0 // L -> Reg lro=0 swapByteOffset=0 ti=64 vIdx=0 rIdx=0 oIdx=0 buffer=2 iui=0
_ds_load_b32 v[vgprValuB_X2_I0+1], v[vgprLocalReadAddrB] offset:4224 // L -> Reg lro=0 swapByteOffset=0 ti=64 vIdx=1 rIdx=0 oIdx=0 buffer=2 iui=0


/* local read inc a */

s_mov_b32 s0, 0x8                                  // inc
_v_add_co_u32 v[vgprLocalReadAddrA], vcc, s0, v[vgprLocalReadAddrA] // lrA += 8 (LSU*bpe)


/* local read inc b */

s_mov_b32 s0, 0x8                                  // inc
_v_add_co_u32 v[vgprLocalReadAddrB], vcc, s0, v[vgprLocalReadAddrB] // lrB += 8 (LSU*bpe)

s_waitcnt lgkmcnt(0)                               // lgkmcnt=0 vmcnt=-14wait for local read


	;; [unrolled: 1-line block ×3, first 2 shown]
/* tail loop mfma iter 2: numReadsIterCoalescedA=1, numReadsIterCoalescedB=1 */
v_and_b32 v89, 63, v[vgprSerial]                   // v89 = v[vgprSerial] % 64
v_lshrrev_b32 v89, 5, v89                          // v89 = v89 / 32
                                                   // v89 = v89 * 1 (multiplier is 1, do nothing)
v_cmp_ge_i32 s[40:41], v89, s[sgprLoopCounterL]    // check K index >= Size L
v_cndmask_b32 v[vgprValuA_X2_I0+0+0+0+0], v[vgprValuA_X2_I0+0+0+0+0], 0x0, s[40:41] // set 0 if K_idx >= sizeL
v_cndmask_b32 v[vgprValuA_X2_I0+1+0+0+0], v[vgprValuA_X2_I0+1+0+0+0], 0x0, s[40:41] // set 0 if K_idx >= sizeL
v_cndmask_b32 v[vgprValuB_X2_I0+0+0+0+0], v[vgprValuB_X2_I0+0+0+0+0], 0x0, s[40:41] // set 0 if K_idx >= sizeL
v_cndmask_b32 v[vgprValuB_X2_I0+1+0+0+0], v[vgprValuB_X2_I0+1+0+0+0], 0x0, s[40:41] // set 0 if K_idx >= sizeL
s_nop 1
v_mfma_f32_32x32x2f32 a[0+0:15+0], v[vgprValuB_X2_I0+0+0+0], v[vgprValuA_X2_I0+0+0+0], a[0:15]
v_mfma_f32_32x32x2f32 a[16+0:31+0], v[vgprValuB_X2_I0+0+0+0], v[vgprValuA_X2_I0+1+0+0], a[16:31]
	;; [unrolled: 1-line block ×4, first 2 shown]


/* closeLoop loopL finalLoop=0 tailLoop=1 */
s_sub_i32 s[sgprLoopCounterL], s[sgprLoopCounterL], 0x2 // dec counterL (tailLoop)
s_add_u32 s[sgprOrigLoopCounter], s[sgprOrigLoopCounter], 0x2 // inc counterL
s_cmp_le_i32 s[sgprLoopCounterL], 0x0              // counterL<=0
s_cbranch_scc1 TailLoopEndL_7                      // exit LoopL


/* tail loop unroll iter 3 */


/* local read a */

_ds_load_b32 v[vgprValuA_X3_I0+0], v[vgprLocalReadAddrA] offset:0 // L -> Reg lro=0 swapByteOffset=0 ti=64 vIdx=0 rIdx=0 oIdx=0 buffer=3 iui=0
_ds_load_b32 v[vgprValuA_X3_I0+1], v[vgprLocalReadAddrA] offset:4224 // L -> Reg lro=0 swapByteOffset=0 ti=64 vIdx=1 rIdx=0 oIdx=0 buffer=3 iui=0


/* local read b */

_ds_load_b32 v[vgprValuB_X3_I0+0], v[vgprLocalReadAddrB] offset:0 // L -> Reg lro=0 swapByteOffset=0 ti=64 vIdx=0 rIdx=0 oIdx=0 buffer=3 iui=0
_ds_load_b32 v[vgprValuB_X3_I0+1], v[vgprLocalReadAddrB] offset:4224 // L -> Reg lro=0 swapByteOffset=0 ti=64 vIdx=1 rIdx=0 oIdx=0 buffer=3 iui=0


/* local read inc a */

s_mov_b32 s0, 0x8                                  // inc
_v_add_co_u32 v[vgprLocalReadAddrA], vcc, s0, v[vgprLocalReadAddrA] // lrA += 8 (LSU*bpe)


/* local read inc b */

s_mov_b32 s0, 0x8                                  // inc
_v_add_co_u32 v[vgprLocalReadAddrB], vcc, s0, v[vgprLocalReadAddrB] // lrB += 8 (LSU*bpe)

s_waitcnt lgkmcnt(0)                               // lgkmcnt=0 vmcnt=-14wait for local read


	;; [unrolled: 1-line block ×3, first 2 shown]
/* tail loop mfma iter 3: numReadsIterCoalescedA=1, numReadsIterCoalescedB=1 */
v_and_b32 v89, 63, v[vgprSerial]                   // v89 = v[vgprSerial] % 64
v_lshrrev_b32 v89, 5, v89                          // v89 = v89 / 32
                                                   // v89 = v89 * 1 (multiplier is 1, do nothing)
v_cmp_ge_i32 s[40:41], v89, s[sgprLoopCounterL]    // check K index >= Size L
v_cndmask_b32 v[vgprValuA_X3_I0+0+0+0+0], v[vgprValuA_X3_I0+0+0+0+0], 0x0, s[40:41] // set 0 if K_idx >= sizeL
v_cndmask_b32 v[vgprValuA_X3_I0+1+0+0+0], v[vgprValuA_X3_I0+1+0+0+0], 0x0, s[40:41] // set 0 if K_idx >= sizeL
v_cndmask_b32 v[vgprValuB_X3_I0+0+0+0+0], v[vgprValuB_X3_I0+0+0+0+0], 0x0, s[40:41] // set 0 if K_idx >= sizeL
v_cndmask_b32 v[vgprValuB_X3_I0+1+0+0+0], v[vgprValuB_X3_I0+1+0+0+0], 0x0, s[40:41] // set 0 if K_idx >= sizeL
s_nop 1
v_mfma_f32_32x32x2f32 a[0+0:15+0], v[vgprValuB_X3_I0+0+0+0], v[vgprValuA_X3_I0+0+0+0], a[0:15]
v_mfma_f32_32x32x2f32 a[16+0:31+0], v[vgprValuB_X3_I0+0+0+0], v[vgprValuA_X3_I0+1+0+0], a[16:31]
	;; [unrolled: 1-line block ×4, first 2 shown]


/* closeLoop loopL finalLoop=0 tailLoop=1 */
s_sub_i32 s[sgprLoopCounterL], s[sgprLoopCounterL], 0x2 // dec counterL (tailLoop)
s_add_u32 s[sgprOrigLoopCounter], s[sgprOrigLoopCounter], 0x2 // inc counterL
s_cmp_le_i32 s[sgprLoopCounterL], 0x0              // counterL<=0
s_cbranch_scc1 TailLoopEndL_7                      // exit LoopL


/* tail loop unroll iter 4 */


/* local read a */

_ds_load_b32 v[vgprValuA_X4_I0+0], v[vgprLocalReadAddrA] offset:0 // L -> Reg lro=0 swapByteOffset=0 ti=64 vIdx=0 rIdx=0 oIdx=0 buffer=4 iui=0
_ds_load_b32 v[vgprValuA_X4_I0+1], v[vgprLocalReadAddrA] offset:4224 // L -> Reg lro=0 swapByteOffset=0 ti=64 vIdx=1 rIdx=0 oIdx=0 buffer=4 iui=0


/* local read b */

_ds_load_b32 v[vgprValuB_X4_I0+0], v[vgprLocalReadAddrB] offset:0 // L -> Reg lro=0 swapByteOffset=0 ti=64 vIdx=0 rIdx=0 oIdx=0 buffer=4 iui=0
_ds_load_b32 v[vgprValuB_X4_I0+1], v[vgprLocalReadAddrB] offset:4224 // L -> Reg lro=0 swapByteOffset=0 ti=64 vIdx=1 rIdx=0 oIdx=0 buffer=4 iui=0


/* local read inc a */

s_mov_b32 s0, 0x8                                  // inc
_v_add_co_u32 v[vgprLocalReadAddrA], vcc, s0, v[vgprLocalReadAddrA] // lrA += 8 (LSU*bpe)


/* local read inc b */

s_mov_b32 s0, 0x8                                  // inc
_v_add_co_u32 v[vgprLocalReadAddrB], vcc, s0, v[vgprLocalReadAddrB] // lrB += 8 (LSU*bpe)

s_waitcnt lgkmcnt(0)                               // lgkmcnt=0 vmcnt=-14wait for local read


	;; [unrolled: 1-line block ×3, first 2 shown]
/* tail loop mfma iter 4: numReadsIterCoalescedA=1, numReadsIterCoalescedB=1 */
v_and_b32 v89, 63, v[vgprSerial]                   // v89 = v[vgprSerial] % 64
v_lshrrev_b32 v89, 5, v89                          // v89 = v89 / 32
                                                   // v89 = v89 * 1 (multiplier is 1, do nothing)
v_cmp_ge_i32 s[40:41], v89, s[sgprLoopCounterL]    // check K index >= Size L
v_cndmask_b32 v[vgprValuA_X4_I0+0+0+0+0], v[vgprValuA_X4_I0+0+0+0+0], 0x0, s[40:41] // set 0 if K_idx >= sizeL
v_cndmask_b32 v[vgprValuA_X4_I0+1+0+0+0], v[vgprValuA_X4_I0+1+0+0+0], 0x0, s[40:41] // set 0 if K_idx >= sizeL
v_cndmask_b32 v[vgprValuB_X4_I0+0+0+0+0], v[vgprValuB_X4_I0+0+0+0+0], 0x0, s[40:41] // set 0 if K_idx >= sizeL
v_cndmask_b32 v[vgprValuB_X4_I0+1+0+0+0], v[vgprValuB_X4_I0+1+0+0+0], 0x0, s[40:41] // set 0 if K_idx >= sizeL
s_nop 1
v_mfma_f32_32x32x2f32 a[0+0:15+0], v[vgprValuB_X4_I0+0+0+0], v[vgprValuA_X4_I0+0+0+0], a[0:15]
v_mfma_f32_32x32x2f32 a[16+0:31+0], v[vgprValuB_X4_I0+0+0+0], v[vgprValuA_X4_I0+1+0+0], a[16:31]
	;; [unrolled: 1-line block ×4, first 2 shown]


/* closeLoop loopL finalLoop=0 tailLoop=1 */
s_sub_i32 s[sgprLoopCounterL], s[sgprLoopCounterL], 0x2 // dec counterL (tailLoop)
s_add_u32 s[sgprOrigLoopCounter], s[sgprOrigLoopCounter], 0x2 // inc counterL
s_cmp_le_i32 s[sgprLoopCounterL], 0x0              // counterL<=0
s_cbranch_scc1 TailLoopEndL_7                      // exit LoopL


/* tail loop unroll iter 5 */


/* local read a */

_ds_load_b32 v[vgprValuA_X5_I0+0], v[vgprLocalReadAddrA] offset:0 // L -> Reg lro=0 swapByteOffset=0 ti=64 vIdx=0 rIdx=0 oIdx=0 buffer=5 iui=0
_ds_load_b32 v[vgprValuA_X5_I0+1], v[vgprLocalReadAddrA] offset:4224 // L -> Reg lro=0 swapByteOffset=0 ti=64 vIdx=1 rIdx=0 oIdx=0 buffer=5 iui=0


/* local read b */

_ds_load_b32 v[vgprValuB_X5_I0+0], v[vgprLocalReadAddrB] offset:0 // L -> Reg lro=0 swapByteOffset=0 ti=64 vIdx=0 rIdx=0 oIdx=0 buffer=5 iui=0
_ds_load_b32 v[vgprValuB_X5_I0+1], v[vgprLocalReadAddrB] offset:4224 // L -> Reg lro=0 swapByteOffset=0 ti=64 vIdx=1 rIdx=0 oIdx=0 buffer=5 iui=0


/* local read inc a */

s_mov_b32 s0, 0x8                                  // inc
_v_add_co_u32 v[vgprLocalReadAddrA], vcc, s0, v[vgprLocalReadAddrA] // lrA += 8 (LSU*bpe)


/* local read inc b */

s_mov_b32 s0, 0x8                                  // inc
_v_add_co_u32 v[vgprLocalReadAddrB], vcc, s0, v[vgprLocalReadAddrB] // lrB += 8 (LSU*bpe)

s_waitcnt lgkmcnt(0)                               // lgkmcnt=0 vmcnt=-14wait for local read



/* tail loop mfma iter 5: numReadsIterCoalescedA=1, numReadsIterCoalescedB=1 */
v_and_b32 v89, 63, v[vgprSerial]                   // v89 = v[vgprSerial] % 64
v_lshrrev_b32 v89, 5, v89                          // v89 = v89 / 32
                                                   // v89 = v89 * 1 (multiplier is 1, do nothing)
v_cmp_ge_i32 s[40:41], v89, s[sgprLoopCounterL]    // check K index >= Size L
v_cndmask_b32 v[vgprValuA_X5_I0+0+0+0+0], v[vgprValuA_X5_I0+0+0+0+0], 0x0, s[40:41] // set 0 if K_idx >= sizeL
v_cndmask_b32 v[vgprValuA_X5_I0+1+0+0+0], v[vgprValuA_X5_I0+1+0+0+0], 0x0, s[40:41] // set 0 if K_idx >= sizeL
v_cndmask_b32 v[vgprValuB_X5_I0+0+0+0+0], v[vgprValuB_X5_I0+0+0+0+0], 0x0, s[40:41] // set 0 if K_idx >= sizeL
v_cndmask_b32 v[vgprValuB_X5_I0+1+0+0+0], v[vgprValuB_X5_I0+1+0+0+0], 0x0, s[40:41] // set 0 if K_idx >= sizeL
s_nop 1
v_mfma_f32_32x32x2f32 a[0+0:15+0], v[vgprValuB_X5_I0+0+0+0], v[vgprValuA_X5_I0+0+0+0], a[0:15]
v_mfma_f32_32x32x2f32 a[16+0:31+0], v[vgprValuB_X5_I0+0+0+0], v[vgprValuA_X5_I0+1+0+0], a[16:31]
v_mfma_f32_32x32x2f32 a[48+0:63+0], v[vgprValuB_X5_I0+1+0+0], v[vgprValuA_X5_I0+1+0+0], a[48:63]
v_mfma_f32_32x32x2f32 a[32+0:47+0], v[vgprValuB_X5_I0+1+0+0], v[vgprValuA_X5_I0+0+0+0], a[32:47]


/* closeLoop loopL finalLoop=0 tailLoop=1 */
s_sub_i32 s[sgprLoopCounterL], s[sgprLoopCounterL], 0x2 // dec counterL (tailLoop)
s_add_u32 s[sgprOrigLoopCounter], s[sgprOrigLoopCounter], 0x2 // inc counterL
s_cmp_le_i32 s[sgprLoopCounterL], 0x0              // counterL<=0
s_cbranch_scc1 TailLoopEndL_7                      // exit LoopL


/* tail loop unroll iter 6 */


/* local read a */

_ds_load_b32 v[vgprValuA_X6_I0+0], v[vgprLocalReadAddrA] offset:0 // L -> Reg lro=0 swapByteOffset=0 ti=64 vIdx=0 rIdx=0 oIdx=0 buffer=6 iui=0
_ds_load_b32 v[vgprValuA_X6_I0+1], v[vgprLocalReadAddrA] offset:4224 // L -> Reg lro=0 swapByteOffset=0 ti=64 vIdx=1 rIdx=0 oIdx=0 buffer=6 iui=0


/* local read b */

_ds_load_b32 v[vgprValuB_X6_I0+0], v[vgprLocalReadAddrB] offset:0 // L -> Reg lro=0 swapByteOffset=0 ti=64 vIdx=0 rIdx=0 oIdx=0 buffer=6 iui=0
_ds_load_b32 v[vgprValuB_X6_I0+1], v[vgprLocalReadAddrB] offset:4224 // L -> Reg lro=0 swapByteOffset=0 ti=64 vIdx=1 rIdx=0 oIdx=0 buffer=6 iui=0


/* local read inc a */

s_mov_b32 s0, 0x8                                  // inc
_v_add_co_u32 v[vgprLocalReadAddrA], vcc, s0, v[vgprLocalReadAddrA] // lrA += 8 (LSU*bpe)


/* local read inc b */

s_mov_b32 s0, 0x8                                  // inc
_v_add_co_u32 v[vgprLocalReadAddrB], vcc, s0, v[vgprLocalReadAddrB] // lrB += 8 (LSU*bpe)

s_waitcnt lgkmcnt(0)                               // lgkmcnt=0 vmcnt=-14wait for local read


	;; [unrolled: 1-line block ×3, first 2 shown]
/* tail loop mfma iter 6: numReadsIterCoalescedA=1, numReadsIterCoalescedB=1 */
v_and_b32 v89, 63, v[vgprSerial]                   // v89 = v[vgprSerial] % 64
v_lshrrev_b32 v89, 5, v89                          // v89 = v89 / 32
                                                   // v89 = v89 * 1 (multiplier is 1, do nothing)
v_cmp_ge_i32 s[40:41], v89, s[sgprLoopCounterL]    // check K index >= Size L
v_cndmask_b32 v[vgprValuA_X6_I0+0+0+0+0], v[vgprValuA_X6_I0+0+0+0+0], 0x0, s[40:41] // set 0 if K_idx >= sizeL
v_cndmask_b32 v[vgprValuA_X6_I0+1+0+0+0], v[vgprValuA_X6_I0+1+0+0+0], 0x0, s[40:41] // set 0 if K_idx >= sizeL
v_cndmask_b32 v[vgprValuB_X6_I0+0+0+0+0], v[vgprValuB_X6_I0+0+0+0+0], 0x0, s[40:41] // set 0 if K_idx >= sizeL
v_cndmask_b32 v[vgprValuB_X6_I0+1+0+0+0], v[vgprValuB_X6_I0+1+0+0+0], 0x0, s[40:41] // set 0 if K_idx >= sizeL
s_nop 1
v_mfma_f32_32x32x2f32 a[0+0:15+0], v[vgprValuB_X6_I0+0+0+0], v[vgprValuA_X6_I0+0+0+0], a[0:15]
v_mfma_f32_32x32x2f32 a[16+0:31+0], v[vgprValuB_X6_I0+0+0+0], v[vgprValuA_X6_I0+1+0+0], a[16:31]
	;; [unrolled: 1-line block ×4, first 2 shown]


/* closeLoop loopL finalLoop=0 tailLoop=1 */
s_sub_i32 s[sgprLoopCounterL], s[sgprLoopCounterL], 0x2 // dec counterL (tailLoop)
s_add_u32 s[sgprOrigLoopCounter], s[sgprOrigLoopCounter], 0x2 // inc counterL
s_cmp_le_i32 s[sgprLoopCounterL], 0x0              // counterL<=0
s_cbranch_scc1 TailLoopEndL_7                      // exit LoopL


/* tail loop unroll iter 7 */


/* local read a */

_ds_load_b32 v[vgprValuA_X7_I0+0], v[vgprLocalReadAddrA] offset:0 // L -> Reg lro=0 swapByteOffset=0 ti=64 vIdx=0 rIdx=0 oIdx=0 buffer=7 iui=0
_ds_load_b32 v[vgprValuA_X7_I0+1], v[vgprLocalReadAddrA] offset:4224 // L -> Reg lro=0 swapByteOffset=0 ti=64 vIdx=1 rIdx=0 oIdx=0 buffer=7 iui=0


/* local read b */

_ds_load_b32 v[vgprValuB_X7_I0+0], v[vgprLocalReadAddrB] offset:0 // L -> Reg lro=0 swapByteOffset=0 ti=64 vIdx=0 rIdx=0 oIdx=0 buffer=7 iui=0
_ds_load_b32 v[vgprValuB_X7_I0+1], v[vgprLocalReadAddrB] offset:4224 // L -> Reg lro=0 swapByteOffset=0 ti=64 vIdx=1 rIdx=0 oIdx=0 buffer=7 iui=0


/* local read inc a */

s_mov_b32 s0, 0x8                                  // inc
_v_add_co_u32 v[vgprLocalReadAddrA], vcc, s0, v[vgprLocalReadAddrA] // lrA += 8 (LSU*bpe)


/* local read inc b */

s_mov_b32 s0, 0x8                                  // inc
_v_add_co_u32 v[vgprLocalReadAddrB], vcc, s0, v[vgprLocalReadAddrB] // lrB += 8 (LSU*bpe)

s_waitcnt lgkmcnt(0)                               // lgkmcnt=0 vmcnt=-14wait for local read


	;; [unrolled: 1-line block ×3, first 2 shown]
/* tail loop mfma iter 7: numReadsIterCoalescedA=1, numReadsIterCoalescedB=1 */
v_and_b32 v89, 63, v[vgprSerial]                   // v89 = v[vgprSerial] % 64
v_lshrrev_b32 v89, 5, v89                          // v89 = v89 / 32
                                                   // v89 = v89 * 1 (multiplier is 1, do nothing)
v_cmp_ge_i32 s[40:41], v89, s[sgprLoopCounterL]    // check K index >= Size L
v_cndmask_b32 v[vgprValuA_X7_I0+0+0+0+0], v[vgprValuA_X7_I0+0+0+0+0], 0x0, s[40:41] // set 0 if K_idx >= sizeL
v_cndmask_b32 v[vgprValuA_X7_I0+1+0+0+0], v[vgprValuA_X7_I0+1+0+0+0], 0x0, s[40:41] // set 0 if K_idx >= sizeL
v_cndmask_b32 v[vgprValuB_X7_I0+0+0+0+0], v[vgprValuB_X7_I0+0+0+0+0], 0x0, s[40:41] // set 0 if K_idx >= sizeL
v_cndmask_b32 v[vgprValuB_X7_I0+1+0+0+0], v[vgprValuB_X7_I0+1+0+0+0], 0x0, s[40:41] // set 0 if K_idx >= sizeL
s_nop 1
v_mfma_f32_32x32x2f32 a[0+0:15+0], v[vgprValuB_X7_I0+0+0+0], v[vgprValuA_X7_I0+0+0+0], a[0:15]
v_mfma_f32_32x32x2f32 a[16+0:31+0], v[vgprValuB_X7_I0+0+0+0], v[vgprValuA_X7_I0+1+0+0], a[16:31]
	;; [unrolled: 1-line block ×4, first 2 shown]


/* closeLoop loopL finalLoop=1 tailLoop=1 */
s_sub_i32 s[sgprLoopCounterL], s[sgprLoopCounterL], 0x2 // dec counterL (tailLoop)
s_add_u32 s[sgprOrigLoopCounter], s[sgprOrigLoopCounter], 0x2 // inc counterL
s_cmp_le_i32 s[sgprLoopCounterL], 0x0              // counterL<=0
s_cbranch_scc0 TailLoopBeginL_6                    // restart LoopL
TailLoopEndL_7:

SkipTailLoopL_8:

Summation_End_18:
/* endSummation: add vgpr [0...86) to pool */
.set NumFullBlocks, UNDEF
.set WgmRemainder1, UNDEF
.set MagicNumberWgmRemainder1, UNDEF

/* Mapping of Acc register -> C Vgpr register */


	;; [unrolled: 1-line block ×3, first 2 shown]
/* not-LocalSplitU: global write indices */

/* computeStoreVgprs */
v_lshrrev_b32 v2, 6, v[vgprSerial]                 // v2 = v[vgprSerial] / 64
v_and_b32 v1, 63, v[vgprSerial]                    // v1 = v[vgprSerial] % 64
v_lshrrev_b32 v1, 5, v1                            // v1 = v1 / 32
v_lshlrev_b32 v1, 0x2, v1                          // thread0 * continuous_output
v_lshrrev_b32 v3, 1, v2                            // v3 = v2 / 2
v_mul_lo_u32 v3, 0x20, v3                          // wave coordination offset 1
_v_add_lshl_u32 v1, v3, v1, 0                      // coordination 1 = vwb *(wave_id1 + tid1)
v_and_b32 v3, 1, v2                                // v3 = v2 % 2
v_mul_lo_u32 v3, 0x20, v3                          // wave coordination offset 0
v_and_b32 v0, 31, v[vgprSerial]                    // v0 = v[vgprSerial] % 32
_v_add_lshl_u32 v0, v3, v0, 0                      // coordination 0 = vwa *(wave_id0 + tid0)
s_mul_i32 s0, 128, s[sgprWorkGroup0]               // wgp0 * MT0
_v_add_u32 v0, s0, v0                              // coord 0 = (tid0/MI_m)*4 + waveG0*MIB_m + MT0*SG0
s_mul_i32 s0, 128, s[sgprWorkGroup1]               // wgp1 * MT1
_v_add_u32 v1, s0, v1                              // coord 1 = (tid0%MI_m) + waveG1*MIB_n + MT1*SG1
v_mov_b32 v2, s[sgprAddressD+0]                    // sgpr -> vgpr
v_mov_b32 v3, s[sgprAddressD+1]                    // sgpr -> vgpr
v_mov_b32 v4, s[sgprAddressC+0]                    // sgpr -> vgpr
v_mov_b32 v5, s[sgprAddressC+1]                    // sgpr -> vgpr


/* not-LocalSplitU: global write */

s_cmpk_eq_u32 s[sgprBeta], 0x0                     // Beta == 0
s_cbranch_scc0 GW_Beta_33                          // Branch if Beta is not zero

s_and_b32 s36, 127, s[sgprSizeI]                   // s36 = s[sgprSizeI] % 128
s_add_u32 s37, -0x1, s[sgprNumWorkGroups0]         // 
s_cmp_ge_u32 s[sgprWorkGroup0], s37                // wg0 >= nwg0-1 ?
s_cselect_b32 s36, s36, 0                          // set rMT0
s_cmpk_gt_u32 s36, 0x0                             // rMT0 > 0
s_cbranch_scc1 GW_B0_E1_24                         // jump if edges required
s_and_b32 s36, 127, s[sgprSizeJ]                   // s36 = s[sgprSizeJ] % 128
s_add_u32 s37, -0x1, s[sgprNumWorkGroups1]         // 
s_cmp_ge_u32 s[sgprWorkGroup1], s37                // wg1 >= nwg1-1
s_cselect_b32 s36, s36, 0                          // set rMT1
s_cmpk_gt_u32 s36, 0x0                             // rMT1 > 0
s_cbranch_scc1 GW_B0_E1_24                         // jump if edges required
GW_B0_E0_21:

/* edge=0, allocate 8 sgpr. perBatchTmpS=4 perBatchMaskS=0 perElementMaskS=2 elementsPerBatch=2 */
/* optSingleColVgpr=0 optSharedColVgpr=0 optSGPRUsage=None optSrdIncForRow=0 */

/******************************************/
/* Global Write Alpha Batch #0 (d1,d0,vc1,vc0) = */
/*    (0,0,0,0:vw1); (0,1,0,0:vw1)        */
/******************************************/

/* calc coords, apply mask, and issue loads (if necessary) */
/* (d1,vc1,d0,vc0)=(0,0,0,0) */
GLOBAL_OFFSET_D 12, 0, 1, sgprWorkGroup2, 8
v_mov_b32 v8, v12                                  // temp store offset 0
v_mov_b32 v9, v13                                  // temp store offset 1
_v_add_co_u32 v12, vcc, v2, v8                     // addrVgpr = D + index*bytes (lo)
_v_addc_co_u32 v13, vcc, v3, v9, vcc               // addrVgpr = D + index*bytes (hi)
/* (d1,vc1,d0,vc0)=(0,0,1,0) */
_v_add_co_u32 v6, vcc, v0, 64                      // coord0.1: coord0 += d0*sg0*VW + vc0
GLOBAL_OFFSET_D 14, 6, 1, sgprWorkGroup2, 8
v_mov_b32 v8, v14                                  // temp store offset 0
v_mov_b32 v9, v15                                  // temp store offset 1
_v_add_co_u32 v14, vcc, v2, v8                     // addrVgpr = D + index*bytes (lo)
_v_addc_co_u32 v15, vcc, v3, v9, vcc               // addrVgpr = D + index*bytes (hi)
v_accvgpr_read_b32 v[vgprValuC+11], acc0 // copy acc to vreg[0]
v_accvgpr_read_b32 v[vgprValuC+16], acc16 // copy acc to vreg[1]
s_nop 1                                            // 2 wait states required before reading vgpr

/* rC *= alpha batchElements=[(0, 0, 0, 0), (0, 1, 0, 0)] */
v_mul_f32 v[vgprValuC+11], s[sgprAlpha], v[vgprValuC+11] // *= alpha
v_mul_f32 v[vgprValuC+16], s[sgprAlpha], v[vgprValuC+16] // *= alpha

/* apply mask, calc new C and issue writes */
_global_store_b32 v[12:13], v11, off               // store D
_global_store_b32 v[14:15], v16, off               // store D
s_nop 0                                            // 1 wait state required when next inst writes vgprs held by previous dwordx4 store inst
/* optSingleColVgpr=0 optSharedColVgpr=0 optSGPRUsage=None optSrdIncForRow=0 */

/******************************************/
/* Global Write Alpha Batch #1 (d1,d0,vc1,vc0) = */
/*    (0,0,1,0:vw1); (0,1,1,0:vw1)        */
/******************************************/

/* calc coords, apply mask, and issue loads (if necessary) */
/* (d1,vc1,d0,vc0)=(0,1,0,0) */
_v_add_co_u32 v1, vcc, v1, 1                       // coord1.1: coord1Vgpr += d1*sg1*VW + vc1
GLOBAL_OFFSET_D 12, 0, 1, sgprWorkGroup2, 8
v_mov_b32 v8, v12                                  // temp store offset 0
v_mov_b32 v9, v13                                  // temp store offset 1
_v_add_co_u32 v12, vcc, v2, v8                     // addrVgpr = D + index*bytes (lo)
_v_addc_co_u32 v13, vcc, v3, v9, vcc               // addrVgpr = D + index*bytes (hi)
/* (d1,vc1,d0,vc0)=(0,1,1,0) */
_v_add_co_u32 v6, vcc, v0, 64                      // coord0.1: coord0 += d0*sg0*VW + vc0
GLOBAL_OFFSET_D 14, 6, 1, sgprWorkGroup2, 8
v_mov_b32 v8, v14                                  // temp store offset 0
v_mov_b32 v9, v15                                  // temp store offset 1
_v_add_co_u32 v14, vcc, v2, v8                     // addrVgpr = D + index*bytes (lo)
_v_addc_co_u32 v15, vcc, v3, v9, vcc               // addrVgpr = D + index*bytes (hi)
v_accvgpr_read_b32 v[vgprValuC+11], acc1 // copy acc to vreg[2]
v_accvgpr_read_b32 v[vgprValuC+16], acc17 // copy acc to vreg[3]
s_nop 1                                            // 2 wait states required before reading vgpr

/* rC *= alpha batchElements=[(0, 0, 1, 0), (0, 1, 1, 0)] */
v_mul_f32 v[vgprValuC+11], s[sgprAlpha], v[vgprValuC+11] // *= alpha
v_mul_f32 v[vgprValuC+16], s[sgprAlpha], v[vgprValuC+16] // *= alpha

/* apply mask, calc new C and issue writes */
_global_store_b32 v[12:13], v11, off               // store D
_global_store_b32 v[14:15], v16, off               // store D
s_nop 0                                            // 1 wait state required when next inst writes vgprs held by previous dwordx4 store inst
/* optSingleColVgpr=0 optSharedColVgpr=0 optSGPRUsage=None optSrdIncForRow=0 */

/******************************************/
/* Global Write Alpha Batch #2 (d1,d0,vc1,vc0) = */
/*    (0,0,2,0:vw1); (0,1,2,0:vw1)        */
/******************************************/

/* calc coords, apply mask, and issue loads (if necessary) */
/* (d1,vc1,d0,vc0)=(0,2,0,0) */
_v_add_co_u32 v1, vcc, v1, 1                       // coord1.1: coord1Vgpr += d1*sg1*VW + vc1
GLOBAL_OFFSET_D 12, 0, 1, sgprWorkGroup2, 8
v_mov_b32 v8, v12                                  // temp store offset 0
v_mov_b32 v9, v13                                  // temp store offset 1
_v_add_co_u32 v12, vcc, v2, v8                     // addrVgpr = D + index*bytes (lo)
_v_addc_co_u32 v13, vcc, v3, v9, vcc               // addrVgpr = D + index*bytes (hi)
/* (d1,vc1,d0,vc0)=(0,2,1,0) */
_v_add_co_u32 v6, vcc, v0, 64                      // coord0.1: coord0 += d0*sg0*VW + vc0
GLOBAL_OFFSET_D 14, 6, 1, sgprWorkGroup2, 8
v_mov_b32 v8, v14                                  // temp store offset 0
v_mov_b32 v9, v15                                  // temp store offset 1
_v_add_co_u32 v14, vcc, v2, v8                     // addrVgpr = D + index*bytes (lo)
_v_addc_co_u32 v15, vcc, v3, v9, vcc               // addrVgpr = D + index*bytes (hi)
v_accvgpr_read_b32 v[vgprValuC+11], acc2 // copy acc to vreg[4]
v_accvgpr_read_b32 v[vgprValuC+16], acc18 // copy acc to vreg[5]
s_nop 1                                            // 2 wait states required before reading vgpr

/* rC *= alpha batchElements=[(0, 0, 2, 0), (0, 1, 2, 0)] */
v_mul_f32 v[vgprValuC+11], s[sgprAlpha], v[vgprValuC+11] // *= alpha
v_mul_f32 v[vgprValuC+16], s[sgprAlpha], v[vgprValuC+16] // *= alpha

/* apply mask, calc new C and issue writes */
_global_store_b32 v[12:13], v11, off               // store D
_global_store_b32 v[14:15], v16, off               // store D
s_nop 0                                            // 1 wait state required when next inst writes vgprs held by previous dwordx4 store inst
/* optSingleColVgpr=0 optSharedColVgpr=0 optSGPRUsage=None optSrdIncForRow=0 */

/******************************************/
/* Global Write Alpha Batch #3 (d1,d0,vc1,vc0) = */
/*    (0,0,3,0:vw1); (0,1,3,0:vw1)        */
/******************************************/

/* calc coords, apply mask, and issue loads (if necessary) */
/* (d1,vc1,d0,vc0)=(0,3,0,0) */
_v_add_co_u32 v1, vcc, v1, 1                       // coord1.1: coord1Vgpr += d1*sg1*VW + vc1
GLOBAL_OFFSET_D 12, 0, 1, sgprWorkGroup2, 8
v_mov_b32 v8, v12                                  // temp store offset 0
v_mov_b32 v9, v13                                  // temp store offset 1
_v_add_co_u32 v12, vcc, v2, v8                     // addrVgpr = D + index*bytes (lo)
_v_addc_co_u32 v13, vcc, v3, v9, vcc               // addrVgpr = D + index*bytes (hi)
/* (d1,vc1,d0,vc0)=(0,3,1,0) */
_v_add_co_u32 v6, vcc, v0, 64                      // coord0.1: coord0 += d0*sg0*VW + vc0
GLOBAL_OFFSET_D 14, 6, 1, sgprWorkGroup2, 8
v_mov_b32 v8, v14                                  // temp store offset 0
v_mov_b32 v9, v15                                  // temp store offset 1
_v_add_co_u32 v14, vcc, v2, v8                     // addrVgpr = D + index*bytes (lo)
_v_addc_co_u32 v15, vcc, v3, v9, vcc               // addrVgpr = D + index*bytes (hi)
v_accvgpr_read_b32 v[vgprValuC+11], acc3 // copy acc to vreg[6]
v_accvgpr_read_b32 v[vgprValuC+16], acc19 // copy acc to vreg[7]
s_nop 1                                            // 2 wait states required before reading vgpr

/* rC *= alpha batchElements=[(0, 0, 3, 0), (0, 1, 3, 0)] */
v_mul_f32 v[vgprValuC+11], s[sgprAlpha], v[vgprValuC+11] // *= alpha
v_mul_f32 v[vgprValuC+16], s[sgprAlpha], v[vgprValuC+16] // *= alpha

/* apply mask, calc new C and issue writes */
_global_store_b32 v[12:13], v11, off               // store D
_global_store_b32 v[14:15], v16, off               // store D
s_nop 0                                            // 1 wait state required when next inst writes vgprs held by previous dwordx4 store inst
/* optSingleColVgpr=0 optSharedColVgpr=0 optSGPRUsage=None optSrdIncForRow=0 */

/******************************************/
/* Global Write Alpha Batch #4 (d1,d0,vc1,vc0) = */
/*    (1,0,0,0:vw1); (1,1,0,0:vw1)        */
/******************************************/

/* calc coords, apply mask, and issue loads (if necessary) */
/* (d1,vc1,d0,vc0)=(1,0,0,0) */
_v_add_co_u32 v1, vcc, v1, 5                       // coord1.1: coord1Vgpr += d1*sg1*VW + vc1
GLOBAL_OFFSET_D 12, 0, 1, sgprWorkGroup2, 8
v_mov_b32 v8, v12                                  // temp store offset 0
v_mov_b32 v9, v13                                  // temp store offset 1
_v_add_co_u32 v12, vcc, v2, v8                     // addrVgpr = D + index*bytes (lo)
_v_addc_co_u32 v13, vcc, v3, v9, vcc               // addrVgpr = D + index*bytes (hi)
/* (d1,vc1,d0,vc0)=(1,0,1,0) */
_v_add_co_u32 v6, vcc, v0, 64                      // coord0.1: coord0 += d0*sg0*VW + vc0
GLOBAL_OFFSET_D 14, 6, 1, sgprWorkGroup2, 8
v_mov_b32 v8, v14                                  // temp store offset 0
v_mov_b32 v9, v15                                  // temp store offset 1
_v_add_co_u32 v14, vcc, v2, v8                     // addrVgpr = D + index*bytes (lo)
_v_addc_co_u32 v15, vcc, v3, v9, vcc               // addrVgpr = D + index*bytes (hi)
v_accvgpr_read_b32 v[vgprValuC+11], acc4 // copy acc to vreg[8]
v_accvgpr_read_b32 v[vgprValuC+16], acc20 // copy acc to vreg[9]
s_nop 1                                            // 2 wait states required before reading vgpr

/* rC *= alpha batchElements=[(1, 0, 0, 0), (1, 1, 0, 0)] */
v_mul_f32 v[vgprValuC+11], s[sgprAlpha], v[vgprValuC+11] // *= alpha
v_mul_f32 v[vgprValuC+16], s[sgprAlpha], v[vgprValuC+16] // *= alpha

/* apply mask, calc new C and issue writes */
_global_store_b32 v[12:13], v11, off               // store D
_global_store_b32 v[14:15], v16, off               // store D
s_nop 0                                            // 1 wait state required when next inst writes vgprs held by previous dwordx4 store inst
/* optSingleColVgpr=0 optSharedColVgpr=0 optSGPRUsage=None optSrdIncForRow=0 */

/******************************************/
/* Global Write Alpha Batch #5 (d1,d0,vc1,vc0) = */
/*    (1,0,1,0:vw1); (1,1,1,0:vw1)        */
/******************************************/

/* calc coords, apply mask, and issue loads (if necessary) */
/* (d1,vc1,d0,vc0)=(1,1,0,0) */
_v_add_co_u32 v1, vcc, v1, 1                       // coord1.1: coord1Vgpr += d1*sg1*VW + vc1
GLOBAL_OFFSET_D 12, 0, 1, sgprWorkGroup2, 8
v_mov_b32 v8, v12                                  // temp store offset 0
v_mov_b32 v9, v13                                  // temp store offset 1
_v_add_co_u32 v12, vcc, v2, v8                     // addrVgpr = D + index*bytes (lo)
_v_addc_co_u32 v13, vcc, v3, v9, vcc               // addrVgpr = D + index*bytes (hi)
/* (d1,vc1,d0,vc0)=(1,1,1,0) */
_v_add_co_u32 v6, vcc, v0, 64                      // coord0.1: coord0 += d0*sg0*VW + vc0
GLOBAL_OFFSET_D 14, 6, 1, sgprWorkGroup2, 8
v_mov_b32 v8, v14                                  // temp store offset 0
v_mov_b32 v9, v15                                  // temp store offset 1
_v_add_co_u32 v14, vcc, v2, v8                     // addrVgpr = D + index*bytes (lo)
_v_addc_co_u32 v15, vcc, v3, v9, vcc               // addrVgpr = D + index*bytes (hi)
v_accvgpr_read_b32 v[vgprValuC+11], acc5 // copy acc to vreg[10]
v_accvgpr_read_b32 v[vgprValuC+16], acc21 // copy acc to vreg[11]
s_nop 1                                            // 2 wait states required before reading vgpr

/* rC *= alpha batchElements=[(1, 0, 1, 0), (1, 1, 1, 0)] */
v_mul_f32 v[vgprValuC+11], s[sgprAlpha], v[vgprValuC+11] // *= alpha
v_mul_f32 v[vgprValuC+16], s[sgprAlpha], v[vgprValuC+16] // *= alpha

/* apply mask, calc new C and issue writes */
_global_store_b32 v[12:13], v11, off               // store D
_global_store_b32 v[14:15], v16, off               // store D
s_nop 0                                            // 1 wait state required when next inst writes vgprs held by previous dwordx4 store inst
/* optSingleColVgpr=0 optSharedColVgpr=0 optSGPRUsage=None optSrdIncForRow=0 */

/******************************************/
/* Global Write Alpha Batch #6 (d1,d0,vc1,vc0) = */
/*    (1,0,2,0:vw1); (1,1,2,0:vw1)        */
/******************************************/

/* calc coords, apply mask, and issue loads (if necessary) */
/* (d1,vc1,d0,vc0)=(1,2,0,0) */
_v_add_co_u32 v1, vcc, v1, 1                       // coord1.1: coord1Vgpr += d1*sg1*VW + vc1
GLOBAL_OFFSET_D 12, 0, 1, sgprWorkGroup2, 8
v_mov_b32 v8, v12                                  // temp store offset 0
v_mov_b32 v9, v13                                  // temp store offset 1
_v_add_co_u32 v12, vcc, v2, v8                     // addrVgpr = D + index*bytes (lo)
_v_addc_co_u32 v13, vcc, v3, v9, vcc               // addrVgpr = D + index*bytes (hi)
/* (d1,vc1,d0,vc0)=(1,2,1,0) */
_v_add_co_u32 v6, vcc, v0, 64                      // coord0.1: coord0 += d0*sg0*VW + vc0
GLOBAL_OFFSET_D 14, 6, 1, sgprWorkGroup2, 8
v_mov_b32 v8, v14                                  // temp store offset 0
v_mov_b32 v9, v15                                  // temp store offset 1
_v_add_co_u32 v14, vcc, v2, v8                     // addrVgpr = D + index*bytes (lo)
_v_addc_co_u32 v15, vcc, v3, v9, vcc               // addrVgpr = D + index*bytes (hi)
v_accvgpr_read_b32 v[vgprValuC+11], acc6 // copy acc to vreg[12]
v_accvgpr_read_b32 v[vgprValuC+16], acc22 // copy acc to vreg[13]
s_nop 1                                            // 2 wait states required before reading vgpr

/* rC *= alpha batchElements=[(1, 0, 2, 0), (1, 1, 2, 0)] */
v_mul_f32 v[vgprValuC+11], s[sgprAlpha], v[vgprValuC+11] // *= alpha
v_mul_f32 v[vgprValuC+16], s[sgprAlpha], v[vgprValuC+16] // *= alpha

/* apply mask, calc new C and issue writes */
_global_store_b32 v[12:13], v11, off               // store D
_global_store_b32 v[14:15], v16, off               // store D
s_nop 0                                            // 1 wait state required when next inst writes vgprs held by previous dwordx4 store inst
/* optSingleColVgpr=0 optSharedColVgpr=0 optSGPRUsage=None optSrdIncForRow=0 */

/******************************************/
/* Global Write Alpha Batch #7 (d1,d0,vc1,vc0) = */
/*    (1,0,3,0:vw1); (1,1,3,0:vw1)        */
/******************************************/

/* calc coords, apply mask, and issue loads (if necessary) */
/* (d1,vc1,d0,vc0)=(1,3,0,0) */
_v_add_co_u32 v1, vcc, v1, 1                       // coord1.1: coord1Vgpr += d1*sg1*VW + vc1
GLOBAL_OFFSET_D 12, 0, 1, sgprWorkGroup2, 8
v_mov_b32 v8, v12                                  // temp store offset 0
v_mov_b32 v9, v13                                  // temp store offset 1
_v_add_co_u32 v12, vcc, v2, v8                     // addrVgpr = D + index*bytes (lo)
_v_addc_co_u32 v13, vcc, v3, v9, vcc               // addrVgpr = D + index*bytes (hi)
/* (d1,vc1,d0,vc0)=(1,3,1,0) */
_v_add_co_u32 v6, vcc, v0, 64                      // coord0.1: coord0 += d0*sg0*VW + vc0
GLOBAL_OFFSET_D 14, 6, 1, sgprWorkGroup2, 8
v_mov_b32 v8, v14                                  // temp store offset 0
v_mov_b32 v9, v15                                  // temp store offset 1
_v_add_co_u32 v14, vcc, v2, v8                     // addrVgpr = D + index*bytes (lo)
_v_addc_co_u32 v15, vcc, v3, v9, vcc               // addrVgpr = D + index*bytes (hi)
v_accvgpr_read_b32 v[vgprValuC+11], acc7 // copy acc to vreg[14]
v_accvgpr_read_b32 v[vgprValuC+16], acc23 // copy acc to vreg[15]
s_nop 1                                            // 2 wait states required before reading vgpr

/* rC *= alpha batchElements=[(1, 0, 3, 0), (1, 1, 3, 0)] */
v_mul_f32 v[vgprValuC+11], s[sgprAlpha], v[vgprValuC+11] // *= alpha
v_mul_f32 v[vgprValuC+16], s[sgprAlpha], v[vgprValuC+16] // *= alpha

/* apply mask, calc new C and issue writes */
_global_store_b32 v[12:13], v11, off               // store D
_global_store_b32 v[14:15], v16, off               // store D
s_nop 0                                            // 1 wait state required when next inst writes vgprs held by previous dwordx4 store inst
/* optSingleColVgpr=0 optSharedColVgpr=0 optSGPRUsage=None optSrdIncForRow=0 */

/******************************************/
/* Global Write Alpha Batch #8 (d1,d0,vc1,vc0) = */
/*    (2,0,0,0:vw1); (2,1,0,0:vw1)        */
/******************************************/

/* calc coords, apply mask, and issue loads (if necessary) */
/* (d1,vc1,d0,vc0)=(2,0,0,0) */
_v_add_co_u32 v1, vcc, v1, 5                       // coord1.1: coord1Vgpr += d1*sg1*VW + vc1
GLOBAL_OFFSET_D 12, 0, 1, sgprWorkGroup2, 8
v_mov_b32 v8, v12                                  // temp store offset 0
v_mov_b32 v9, v13                                  // temp store offset 1
_v_add_co_u32 v12, vcc, v2, v8                     // addrVgpr = D + index*bytes (lo)
_v_addc_co_u32 v13, vcc, v3, v9, vcc               // addrVgpr = D + index*bytes (hi)
/* (d1,vc1,d0,vc0)=(2,0,1,0) */
_v_add_co_u32 v6, vcc, v0, 64                      // coord0.1: coord0 += d0*sg0*VW + vc0
GLOBAL_OFFSET_D 14, 6, 1, sgprWorkGroup2, 8
v_mov_b32 v8, v14                                  // temp store offset 0
v_mov_b32 v9, v15                                  // temp store offset 1
_v_add_co_u32 v14, vcc, v2, v8                     // addrVgpr = D + index*bytes (lo)
_v_addc_co_u32 v15, vcc, v3, v9, vcc               // addrVgpr = D + index*bytes (hi)
v_accvgpr_read_b32 v[vgprValuC+11], acc8 // copy acc to vreg[16]
v_accvgpr_read_b32 v[vgprValuC+16], acc24 // copy acc to vreg[17]
s_nop 1                                            // 2 wait states required before reading vgpr

/* rC *= alpha batchElements=[(2, 0, 0, 0), (2, 1, 0, 0)] */
v_mul_f32 v[vgprValuC+11], s[sgprAlpha], v[vgprValuC+11] // *= alpha
v_mul_f32 v[vgprValuC+16], s[sgprAlpha], v[vgprValuC+16] // *= alpha

/* apply mask, calc new C and issue writes */
_global_store_b32 v[12:13], v11, off               // store D
_global_store_b32 v[14:15], v16, off               // store D
s_nop 0                                            // 1 wait state required when next inst writes vgprs held by previous dwordx4 store inst
/* optSingleColVgpr=0 optSharedColVgpr=0 optSGPRUsage=None optSrdIncForRow=0 */

/******************************************/
/* Global Write Alpha Batch #9 (d1,d0,vc1,vc0) = */
/*    (2,0,1,0:vw1); (2,1,1,0:vw1)        */
/******************************************/

/* calc coords, apply mask, and issue loads (if necessary) */
/* (d1,vc1,d0,vc0)=(2,1,0,0) */
_v_add_co_u32 v1, vcc, v1, 1                       // coord1.1: coord1Vgpr += d1*sg1*VW + vc1
GLOBAL_OFFSET_D 12, 0, 1, sgprWorkGroup2, 8
v_mov_b32 v8, v12                                  // temp store offset 0
v_mov_b32 v9, v13                                  // temp store offset 1
_v_add_co_u32 v12, vcc, v2, v8                     // addrVgpr = D + index*bytes (lo)
_v_addc_co_u32 v13, vcc, v3, v9, vcc               // addrVgpr = D + index*bytes (hi)
/* (d1,vc1,d0,vc0)=(2,1,1,0) */
_v_add_co_u32 v6, vcc, v0, 64                      // coord0.1: coord0 += d0*sg0*VW + vc0
GLOBAL_OFFSET_D 14, 6, 1, sgprWorkGroup2, 8
v_mov_b32 v8, v14                                  // temp store offset 0
v_mov_b32 v9, v15                                  // temp store offset 1
_v_add_co_u32 v14, vcc, v2, v8                     // addrVgpr = D + index*bytes (lo)
_v_addc_co_u32 v15, vcc, v3, v9, vcc               // addrVgpr = D + index*bytes (hi)
v_accvgpr_read_b32 v[vgprValuC+11], acc9 // copy acc to vreg[18]
v_accvgpr_read_b32 v[vgprValuC+16], acc25 // copy acc to vreg[19]
s_nop 1                                            // 2 wait states required before reading vgpr

/* rC *= alpha batchElements=[(2, 0, 1, 0), (2, 1, 1, 0)] */
v_mul_f32 v[vgprValuC+11], s[sgprAlpha], v[vgprValuC+11] // *= alpha
v_mul_f32 v[vgprValuC+16], s[sgprAlpha], v[vgprValuC+16] // *= alpha

/* apply mask, calc new C and issue writes */
_global_store_b32 v[12:13], v11, off               // store D
_global_store_b32 v[14:15], v16, off               // store D
s_nop 0                                            // 1 wait state required when next inst writes vgprs held by previous dwordx4 store inst
/* optSingleColVgpr=0 optSharedColVgpr=0 optSGPRUsage=None optSrdIncForRow=0 */

/******************************************/
/* Global Write Alpha Batch #10 (d1,d0,vc1,vc0) = */
/*    (2,0,2,0:vw1); (2,1,2,0:vw1)        */
/******************************************/

/* calc coords, apply mask, and issue loads (if necessary) */
/* (d1,vc1,d0,vc0)=(2,2,0,0) */
_v_add_co_u32 v1, vcc, v1, 1                       // coord1.1: coord1Vgpr += d1*sg1*VW + vc1
GLOBAL_OFFSET_D 12, 0, 1, sgprWorkGroup2, 8
v_mov_b32 v8, v12                                  // temp store offset 0
v_mov_b32 v9, v13                                  // temp store offset 1
_v_add_co_u32 v12, vcc, v2, v8                     // addrVgpr = D + index*bytes (lo)
_v_addc_co_u32 v13, vcc, v3, v9, vcc               // addrVgpr = D + index*bytes (hi)
/* (d1,vc1,d0,vc0)=(2,2,1,0) */
_v_add_co_u32 v6, vcc, v0, 64                      // coord0.1: coord0 += d0*sg0*VW + vc0
GLOBAL_OFFSET_D 14, 6, 1, sgprWorkGroup2, 8
v_mov_b32 v8, v14                                  // temp store offset 0
v_mov_b32 v9, v15                                  // temp store offset 1
_v_add_co_u32 v14, vcc, v2, v8                     // addrVgpr = D + index*bytes (lo)
_v_addc_co_u32 v15, vcc, v3, v9, vcc               // addrVgpr = D + index*bytes (hi)
v_accvgpr_read_b32 v[vgprValuC+11], acc10 // copy acc to vreg[20]
v_accvgpr_read_b32 v[vgprValuC+16], acc26 // copy acc to vreg[21]
s_nop 1                                            // 2 wait states required before reading vgpr

/* rC *= alpha batchElements=[(2, 0, 2, 0), (2, 1, 2, 0)] */
v_mul_f32 v[vgprValuC+11], s[sgprAlpha], v[vgprValuC+11] // *= alpha
v_mul_f32 v[vgprValuC+16], s[sgprAlpha], v[vgprValuC+16] // *= alpha

/* apply mask, calc new C and issue writes */
_global_store_b32 v[12:13], v11, off               // store D
_global_store_b32 v[14:15], v16, off               // store D
s_nop 0                                            // 1 wait state required when next inst writes vgprs held by previous dwordx4 store inst
/* optSingleColVgpr=0 optSharedColVgpr=0 optSGPRUsage=None optSrdIncForRow=0 */

/******************************************/
/* Global Write Alpha Batch #11 (d1,d0,vc1,vc0) = */
/*    (2,0,3,0:vw1); (2,1,3,0:vw1)        */
/******************************************/

/* calc coords, apply mask, and issue loads (if necessary) */
/* (d1,vc1,d0,vc0)=(2,3,0,0) */
_v_add_co_u32 v1, vcc, v1, 1                       // coord1.1: coord1Vgpr += d1*sg1*VW + vc1
GLOBAL_OFFSET_D 12, 0, 1, sgprWorkGroup2, 8
v_mov_b32 v8, v12                                  // temp store offset 0
v_mov_b32 v9, v13                                  // temp store offset 1
_v_add_co_u32 v12, vcc, v2, v8                     // addrVgpr = D + index*bytes (lo)
_v_addc_co_u32 v13, vcc, v3, v9, vcc               // addrVgpr = D + index*bytes (hi)
/* (d1,vc1,d0,vc0)=(2,3,1,0) */
_v_add_co_u32 v6, vcc, v0, 64                      // coord0.1: coord0 += d0*sg0*VW + vc0
GLOBAL_OFFSET_D 14, 6, 1, sgprWorkGroup2, 8
v_mov_b32 v8, v14                                  // temp store offset 0
v_mov_b32 v9, v15                                  // temp store offset 1
_v_add_co_u32 v14, vcc, v2, v8                     // addrVgpr = D + index*bytes (lo)
_v_addc_co_u32 v15, vcc, v3, v9, vcc               // addrVgpr = D + index*bytes (hi)
v_accvgpr_read_b32 v[vgprValuC+11], acc11 // copy acc to vreg[22]
v_accvgpr_read_b32 v[vgprValuC+16], acc27 // copy acc to vreg[23]
s_nop 1                                            // 2 wait states required before reading vgpr

/* rC *= alpha batchElements=[(2, 0, 3, 0), (2, 1, 3, 0)] */
v_mul_f32 v[vgprValuC+11], s[sgprAlpha], v[vgprValuC+11] // *= alpha
v_mul_f32 v[vgprValuC+16], s[sgprAlpha], v[vgprValuC+16] // *= alpha

/* apply mask, calc new C and issue writes */
_global_store_b32 v[12:13], v11, off               // store D
_global_store_b32 v[14:15], v16, off               // store D
s_nop 0                                            // 1 wait state required when next inst writes vgprs held by previous dwordx4 store inst
/* optSingleColVgpr=0 optSharedColVgpr=0 optSGPRUsage=None optSrdIncForRow=0 */

/******************************************/
/* Global Write Alpha Batch #12 (d1,d0,vc1,vc0) = */
/*    (3,0,0,0:vw1); (3,1,0,0:vw1)        */
/******************************************/

/* calc coords, apply mask, and issue loads (if necessary) */
/* (d1,vc1,d0,vc0)=(3,0,0,0) */
_v_add_co_u32 v1, vcc, v1, 5                       // coord1.1: coord1Vgpr += d1*sg1*VW + vc1
GLOBAL_OFFSET_D 12, 0, 1, sgprWorkGroup2, 8
v_mov_b32 v8, v12                                  // temp store offset 0
v_mov_b32 v9, v13                                  // temp store offset 1
_v_add_co_u32 v12, vcc, v2, v8                     // addrVgpr = D + index*bytes (lo)
_v_addc_co_u32 v13, vcc, v3, v9, vcc               // addrVgpr = D + index*bytes (hi)
/* (d1,vc1,d0,vc0)=(3,0,1,0) */
_v_add_co_u32 v6, vcc, v0, 64                      // coord0.1: coord0 += d0*sg0*VW + vc0
GLOBAL_OFFSET_D 14, 6, 1, sgprWorkGroup2, 8
v_mov_b32 v8, v14                                  // temp store offset 0
v_mov_b32 v9, v15                                  // temp store offset 1
_v_add_co_u32 v14, vcc, v2, v8                     // addrVgpr = D + index*bytes (lo)
_v_addc_co_u32 v15, vcc, v3, v9, vcc               // addrVgpr = D + index*bytes (hi)
v_accvgpr_read_b32 v[vgprValuC+11], acc12 // copy acc to vreg[24]
v_accvgpr_read_b32 v[vgprValuC+16], acc28 // copy acc to vreg[25]
s_nop 1                                            // 2 wait states required before reading vgpr

/* rC *= alpha batchElements=[(3, 0, 0, 0), (3, 1, 0, 0)] */
v_mul_f32 v[vgprValuC+11], s[sgprAlpha], v[vgprValuC+11] // *= alpha
v_mul_f32 v[vgprValuC+16], s[sgprAlpha], v[vgprValuC+16] // *= alpha

/* apply mask, calc new C and issue writes */
_global_store_b32 v[12:13], v11, off               // store D
_global_store_b32 v[14:15], v16, off               // store D
s_nop 0                                            // 1 wait state required when next inst writes vgprs held by previous dwordx4 store inst
/* optSingleColVgpr=0 optSharedColVgpr=0 optSGPRUsage=None optSrdIncForRow=0 */

/******************************************/
/* Global Write Alpha Batch #13 (d1,d0,vc1,vc0) = */
/*    (3,0,1,0:vw1); (3,1,1,0:vw1)        */
/******************************************/

/* calc coords, apply mask, and issue loads (if necessary) */
/* (d1,vc1,d0,vc0)=(3,1,0,0) */
_v_add_co_u32 v1, vcc, v1, 1                       // coord1.1: coord1Vgpr += d1*sg1*VW + vc1
GLOBAL_OFFSET_D 12, 0, 1, sgprWorkGroup2, 8
v_mov_b32 v8, v12                                  // temp store offset 0
v_mov_b32 v9, v13                                  // temp store offset 1
_v_add_co_u32 v12, vcc, v2, v8                     // addrVgpr = D + index*bytes (lo)
_v_addc_co_u32 v13, vcc, v3, v9, vcc               // addrVgpr = D + index*bytes (hi)
/* (d1,vc1,d0,vc0)=(3,1,1,0) */
_v_add_co_u32 v6, vcc, v0, 64                      // coord0.1: coord0 += d0*sg0*VW + vc0
GLOBAL_OFFSET_D 14, 6, 1, sgprWorkGroup2, 8
v_mov_b32 v8, v14                                  // temp store offset 0
v_mov_b32 v9, v15                                  // temp store offset 1
_v_add_co_u32 v14, vcc, v2, v8                     // addrVgpr = D + index*bytes (lo)
_v_addc_co_u32 v15, vcc, v3, v9, vcc               // addrVgpr = D + index*bytes (hi)
v_accvgpr_read_b32 v[vgprValuC+11], acc13 // copy acc to vreg[26]
v_accvgpr_read_b32 v[vgprValuC+16], acc29 // copy acc to vreg[27]
s_nop 1                                            // 2 wait states required before reading vgpr

/* rC *= alpha batchElements=[(3, 0, 1, 0), (3, 1, 1, 0)] */
v_mul_f32 v[vgprValuC+11], s[sgprAlpha], v[vgprValuC+11] // *= alpha
v_mul_f32 v[vgprValuC+16], s[sgprAlpha], v[vgprValuC+16] // *= alpha

/* apply mask, calc new C and issue writes */
_global_store_b32 v[12:13], v11, off               // store D
_global_store_b32 v[14:15], v16, off               // store D
s_nop 0                                            // 1 wait state required when next inst writes vgprs held by previous dwordx4 store inst
/* optSingleColVgpr=0 optSharedColVgpr=0 optSGPRUsage=None optSrdIncForRow=0 */

/******************************************/
/* Global Write Alpha Batch #14 (d1,d0,vc1,vc0) = */
/*    (3,0,2,0:vw1); (3,1,2,0:vw1)        */
/******************************************/

/* calc coords, apply mask, and issue loads (if necessary) */
/* (d1,vc1,d0,vc0)=(3,2,0,0) */
_v_add_co_u32 v1, vcc, v1, 1                       // coord1.1: coord1Vgpr += d1*sg1*VW + vc1
GLOBAL_OFFSET_D 12, 0, 1, sgprWorkGroup2, 8
v_mov_b32 v8, v12                                  // temp store offset 0
v_mov_b32 v9, v13                                  // temp store offset 1
_v_add_co_u32 v12, vcc, v2, v8                     // addrVgpr = D + index*bytes (lo)
_v_addc_co_u32 v13, vcc, v3, v9, vcc               // addrVgpr = D + index*bytes (hi)
/* (d1,vc1,d0,vc0)=(3,2,1,0) */
_v_add_co_u32 v6, vcc, v0, 64                      // coord0.1: coord0 += d0*sg0*VW + vc0
GLOBAL_OFFSET_D 14, 6, 1, sgprWorkGroup2, 8
v_mov_b32 v8, v14                                  // temp store offset 0
v_mov_b32 v9, v15                                  // temp store offset 1
_v_add_co_u32 v14, vcc, v2, v8                     // addrVgpr = D + index*bytes (lo)
_v_addc_co_u32 v15, vcc, v3, v9, vcc               // addrVgpr = D + index*bytes (hi)
v_accvgpr_read_b32 v[vgprValuC+11], acc14 // copy acc to vreg[28]
v_accvgpr_read_b32 v[vgprValuC+16], acc30 // copy acc to vreg[29]
s_nop 1                                            // 2 wait states required before reading vgpr

/* rC *= alpha batchElements=[(3, 0, 2, 0), (3, 1, 2, 0)] */
v_mul_f32 v[vgprValuC+11], s[sgprAlpha], v[vgprValuC+11] // *= alpha
v_mul_f32 v[vgprValuC+16], s[sgprAlpha], v[vgprValuC+16] // *= alpha

/* apply mask, calc new C and issue writes */
_global_store_b32 v[12:13], v11, off               // store D
_global_store_b32 v[14:15], v16, off               // store D
s_nop 0                                            // 1 wait state required when next inst writes vgprs held by previous dwordx4 store inst
/* optSingleColVgpr=0 optSharedColVgpr=0 optSGPRUsage=None optSrdIncForRow=0 */

/******************************************/
/* Global Write Alpha Batch #15 (d1,d0,vc1,vc0) = */
/*    (3,0,3,0:vw1); (3,1,3,0:vw1)        */
/******************************************/

/* calc coords, apply mask, and issue loads (if necessary) */
/* (d1,vc1,d0,vc0)=(3,3,0,0) */
_v_add_co_u32 v1, vcc, v1, 1                       // coord1.1: coord1Vgpr += d1*sg1*VW + vc1
GLOBAL_OFFSET_D 12, 0, 1, sgprWorkGroup2, 8
v_mov_b32 v8, v12                                  // temp store offset 0
v_mov_b32 v9, v13                                  // temp store offset 1
_v_add_co_u32 v12, vcc, v2, v8                     // addrVgpr = D + index*bytes (lo)
_v_addc_co_u32 v13, vcc, v3, v9, vcc               // addrVgpr = D + index*bytes (hi)
/* (d1,vc1,d0,vc0)=(3,3,1,0) */
_v_add_co_u32 v6, vcc, v0, 64                      // coord0.1: coord0 += d0*sg0*VW + vc0
GLOBAL_OFFSET_D 14, 6, 1, sgprWorkGroup2, 8
v_mov_b32 v8, v14                                  // temp store offset 0
v_mov_b32 v9, v15                                  // temp store offset 1
_v_add_co_u32 v14, vcc, v2, v8                     // addrVgpr = D + index*bytes (lo)
_v_addc_co_u32 v15, vcc, v3, v9, vcc               // addrVgpr = D + index*bytes (hi)
v_accvgpr_read_b32 v[vgprValuC+11], acc15 // copy acc to vreg[30]
v_accvgpr_read_b32 v[vgprValuC+16], acc31 // copy acc to vreg[31]
s_nop 1                                            // 2 wait states required before reading vgpr

/* rC *= alpha batchElements=[(3, 0, 3, 0), (3, 1, 3, 0)] */
v_mul_f32 v[vgprValuC+11], s[sgprAlpha], v[vgprValuC+11] // *= alpha
v_mul_f32 v[vgprValuC+16], s[sgprAlpha], v[vgprValuC+16] // *= alpha

/* apply mask, calc new C and issue writes */
_global_store_b32 v[12:13], v11, off               // store D
_global_store_b32 v[14:15], v16, off               // store D
s_nop 0                                            // 1 wait state required when next inst writes vgprs held by previous dwordx4 store inst
/* optSingleColVgpr=0 optSharedColVgpr=0 optSGPRUsage=None optSrdIncForRow=0 */

/******************************************/
/* Global Write Alpha Batch #16 (d1,d0,vc1,vc0) = */
/*    (4,0,0,0:vw1); (4,1,0,0:vw1)        */
/******************************************/

/* calc coords, apply mask, and issue loads (if necessary) */
/* (d1,vc1,d0,vc0)=(4,0,0,0) */
_v_add_co_u32 v1, vcc, v1, 37                      // coord1.1: coord1Vgpr += d1*sg1*VW + vc1
GLOBAL_OFFSET_D 12, 0, 1, sgprWorkGroup2, 8
v_mov_b32 v8, v12                                  // temp store offset 0
v_mov_b32 v9, v13                                  // temp store offset 1
_v_add_co_u32 v12, vcc, v2, v8                     // addrVgpr = D + index*bytes (lo)
_v_addc_co_u32 v13, vcc, v3, v9, vcc               // addrVgpr = D + index*bytes (hi)
/* (d1,vc1,d0,vc0)=(4,0,1,0) */
_v_add_co_u32 v6, vcc, v0, 64                      // coord0.1: coord0 += d0*sg0*VW + vc0
GLOBAL_OFFSET_D 14, 6, 1, sgprWorkGroup2, 8
v_mov_b32 v8, v14                                  // temp store offset 0
v_mov_b32 v9, v15                                  // temp store offset 1
_v_add_co_u32 v14, vcc, v2, v8                     // addrVgpr = D + index*bytes (lo)
_v_addc_co_u32 v15, vcc, v3, v9, vcc               // addrVgpr = D + index*bytes (hi)
v_accvgpr_read_b32 v[vgprValuC+11], acc32 // copy acc to vreg[32]
v_accvgpr_read_b32 v[vgprValuC+16], acc48 // copy acc to vreg[33]
s_nop 1                                            // 2 wait states required before reading vgpr

/* rC *= alpha batchElements=[(4, 0, 0, 0), (4, 1, 0, 0)] */
v_mul_f32 v[vgprValuC+11], s[sgprAlpha], v[vgprValuC+11] // *= alpha
v_mul_f32 v[vgprValuC+16], s[sgprAlpha], v[vgprValuC+16] // *= alpha

/* apply mask, calc new C and issue writes */
_global_store_b32 v[12:13], v11, off               // store D
_global_store_b32 v[14:15], v16, off               // store D
s_nop 0                                            // 1 wait state required when next inst writes vgprs held by previous dwordx4 store inst
/* optSingleColVgpr=0 optSharedColVgpr=0 optSGPRUsage=None optSrdIncForRow=0 */

/******************************************/
/* Global Write Alpha Batch #17 (d1,d0,vc1,vc0) = */
/*    (4,0,1,0:vw1); (4,1,1,0:vw1)        */
/******************************************/

/* calc coords, apply mask, and issue loads (if necessary) */
/* (d1,vc1,d0,vc0)=(4,1,0,0) */
_v_add_co_u32 v1, vcc, v1, 1                       // coord1.1: coord1Vgpr += d1*sg1*VW + vc1
GLOBAL_OFFSET_D 12, 0, 1, sgprWorkGroup2, 8
v_mov_b32 v8, v12                                  // temp store offset 0
v_mov_b32 v9, v13                                  // temp store offset 1
_v_add_co_u32 v12, vcc, v2, v8                     // addrVgpr = D + index*bytes (lo)
_v_addc_co_u32 v13, vcc, v3, v9, vcc               // addrVgpr = D + index*bytes (hi)
/* (d1,vc1,d0,vc0)=(4,1,1,0) */
_v_add_co_u32 v6, vcc, v0, 64                      // coord0.1: coord0 += d0*sg0*VW + vc0
GLOBAL_OFFSET_D 14, 6, 1, sgprWorkGroup2, 8
v_mov_b32 v8, v14                                  // temp store offset 0
v_mov_b32 v9, v15                                  // temp store offset 1
_v_add_co_u32 v14, vcc, v2, v8                     // addrVgpr = D + index*bytes (lo)
_v_addc_co_u32 v15, vcc, v3, v9, vcc               // addrVgpr = D + index*bytes (hi)
v_accvgpr_read_b32 v[vgprValuC+11], acc33 // copy acc to vreg[34]
v_accvgpr_read_b32 v[vgprValuC+16], acc49 // copy acc to vreg[35]
s_nop 1                                            // 2 wait states required before reading vgpr

/* rC *= alpha batchElements=[(4, 0, 1, 0), (4, 1, 1, 0)] */
v_mul_f32 v[vgprValuC+11], s[sgprAlpha], v[vgprValuC+11] // *= alpha
v_mul_f32 v[vgprValuC+16], s[sgprAlpha], v[vgprValuC+16] // *= alpha

/* apply mask, calc new C and issue writes */
_global_store_b32 v[12:13], v11, off               // store D
_global_store_b32 v[14:15], v16, off               // store D
s_nop 0                                            // 1 wait state required when next inst writes vgprs held by previous dwordx4 store inst
/* optSingleColVgpr=0 optSharedColVgpr=0 optSGPRUsage=None optSrdIncForRow=0 */

/******************************************/
/* Global Write Alpha Batch #18 (d1,d0,vc1,vc0) = */
/*    (4,0,2,0:vw1); (4,1,2,0:vw1)        */
/******************************************/

/* calc coords, apply mask, and issue loads (if necessary) */
/* (d1,vc1,d0,vc0)=(4,2,0,0) */
_v_add_co_u32 v1, vcc, v1, 1                       // coord1.1: coord1Vgpr += d1*sg1*VW + vc1
GLOBAL_OFFSET_D 12, 0, 1, sgprWorkGroup2, 8
v_mov_b32 v8, v12                                  // temp store offset 0
v_mov_b32 v9, v13                                  // temp store offset 1
_v_add_co_u32 v12, vcc, v2, v8                     // addrVgpr = D + index*bytes (lo)
_v_addc_co_u32 v13, vcc, v3, v9, vcc               // addrVgpr = D + index*bytes (hi)
/* (d1,vc1,d0,vc0)=(4,2,1,0) */
_v_add_co_u32 v6, vcc, v0, 64                      // coord0.1: coord0 += d0*sg0*VW + vc0
GLOBAL_OFFSET_D 14, 6, 1, sgprWorkGroup2, 8
v_mov_b32 v8, v14                                  // temp store offset 0
v_mov_b32 v9, v15                                  // temp store offset 1
_v_add_co_u32 v14, vcc, v2, v8                     // addrVgpr = D + index*bytes (lo)
_v_addc_co_u32 v15, vcc, v3, v9, vcc               // addrVgpr = D + index*bytes (hi)
v_accvgpr_read_b32 v[vgprValuC+11], acc34 // copy acc to vreg[36]
v_accvgpr_read_b32 v[vgprValuC+16], acc50 // copy acc to vreg[37]
s_nop 1                                            // 2 wait states required before reading vgpr

/* rC *= alpha batchElements=[(4, 0, 2, 0), (4, 1, 2, 0)] */
v_mul_f32 v[vgprValuC+11], s[sgprAlpha], v[vgprValuC+11] // *= alpha
v_mul_f32 v[vgprValuC+16], s[sgprAlpha], v[vgprValuC+16] // *= alpha

/* apply mask, calc new C and issue writes */
_global_store_b32 v[12:13], v11, off               // store D
_global_store_b32 v[14:15], v16, off               // store D
s_nop 0                                            // 1 wait state required when next inst writes vgprs held by previous dwordx4 store inst
/* optSingleColVgpr=0 optSharedColVgpr=0 optSGPRUsage=None optSrdIncForRow=0 */

/******************************************/
/* Global Write Alpha Batch #19 (d1,d0,vc1,vc0) = */
/*    (4,0,3,0:vw1); (4,1,3,0:vw1)        */
/******************************************/

/* calc coords, apply mask, and issue loads (if necessary) */
/* (d1,vc1,d0,vc0)=(4,3,0,0) */
_v_add_co_u32 v1, vcc, v1, 1                       // coord1.1: coord1Vgpr += d1*sg1*VW + vc1
GLOBAL_OFFSET_D 12, 0, 1, sgprWorkGroup2, 8
v_mov_b32 v8, v12                                  // temp store offset 0
v_mov_b32 v9, v13                                  // temp store offset 1
_v_add_co_u32 v12, vcc, v2, v8                     // addrVgpr = D + index*bytes (lo)
_v_addc_co_u32 v13, vcc, v3, v9, vcc               // addrVgpr = D + index*bytes (hi)
/* (d1,vc1,d0,vc0)=(4,3,1,0) */
_v_add_co_u32 v6, vcc, v0, 64                      // coord0.1: coord0 += d0*sg0*VW + vc0
GLOBAL_OFFSET_D 14, 6, 1, sgprWorkGroup2, 8
v_mov_b32 v8, v14                                  // temp store offset 0
v_mov_b32 v9, v15                                  // temp store offset 1
_v_add_co_u32 v14, vcc, v2, v8                     // addrVgpr = D + index*bytes (lo)
_v_addc_co_u32 v15, vcc, v3, v9, vcc               // addrVgpr = D + index*bytes (hi)
v_accvgpr_read_b32 v[vgprValuC+11], acc35 // copy acc to vreg[38]
v_accvgpr_read_b32 v[vgprValuC+16], acc51 // copy acc to vreg[39]
s_nop 1                                            // 2 wait states required before reading vgpr

/* rC *= alpha batchElements=[(4, 0, 3, 0), (4, 1, 3, 0)] */
v_mul_f32 v[vgprValuC+11], s[sgprAlpha], v[vgprValuC+11] // *= alpha
v_mul_f32 v[vgprValuC+16], s[sgprAlpha], v[vgprValuC+16] // *= alpha

/* apply mask, calc new C and issue writes */
_global_store_b32 v[12:13], v11, off               // store D
_global_store_b32 v[14:15], v16, off               // store D
s_nop 0                                            // 1 wait state required when next inst writes vgprs held by previous dwordx4 store inst
/* optSingleColVgpr=0 optSharedColVgpr=0 optSGPRUsage=None optSrdIncForRow=0 */

/******************************************/
/* Global Write Alpha Batch #20 (d1,d0,vc1,vc0) = */
/*    (5,0,0,0:vw1); (5,1,0,0:vw1)        */
/******************************************/

/* calc coords, apply mask, and issue loads (if necessary) */
/* (d1,vc1,d0,vc0)=(5,0,0,0) */
_v_add_co_u32 v1, vcc, v1, 5                       // coord1.1: coord1Vgpr += d1*sg1*VW + vc1
GLOBAL_OFFSET_D 12, 0, 1, sgprWorkGroup2, 8
v_mov_b32 v8, v12                                  // temp store offset 0
v_mov_b32 v9, v13                                  // temp store offset 1
_v_add_co_u32 v12, vcc, v2, v8                     // addrVgpr = D + index*bytes (lo)
_v_addc_co_u32 v13, vcc, v3, v9, vcc               // addrVgpr = D + index*bytes (hi)
/* (d1,vc1,d0,vc0)=(5,0,1,0) */
_v_add_co_u32 v6, vcc, v0, 64                      // coord0.1: coord0 += d0*sg0*VW + vc0
GLOBAL_OFFSET_D 14, 6, 1, sgprWorkGroup2, 8
v_mov_b32 v8, v14                                  // temp store offset 0
v_mov_b32 v9, v15                                  // temp store offset 1
_v_add_co_u32 v14, vcc, v2, v8                     // addrVgpr = D + index*bytes (lo)
_v_addc_co_u32 v15, vcc, v3, v9, vcc               // addrVgpr = D + index*bytes (hi)
v_accvgpr_read_b32 v[vgprValuC+11], acc36 // copy acc to vreg[40]
v_accvgpr_read_b32 v[vgprValuC+16], acc52 // copy acc to vreg[41]
s_nop 1                                            // 2 wait states required before reading vgpr

/* rC *= alpha batchElements=[(5, 0, 0, 0), (5, 1, 0, 0)] */
v_mul_f32 v[vgprValuC+11], s[sgprAlpha], v[vgprValuC+11] // *= alpha
v_mul_f32 v[vgprValuC+16], s[sgprAlpha], v[vgprValuC+16] // *= alpha

/* apply mask, calc new C and issue writes */
_global_store_b32 v[12:13], v11, off               // store D
_global_store_b32 v[14:15], v16, off               // store D
s_nop 0                                            // 1 wait state required when next inst writes vgprs held by previous dwordx4 store inst
/* optSingleColVgpr=0 optSharedColVgpr=0 optSGPRUsage=None optSrdIncForRow=0 */

/******************************************/
/* Global Write Alpha Batch #21 (d1,d0,vc1,vc0) = */
/*    (5,0,1,0:vw1); (5,1,1,0:vw1)        */
/******************************************/

/* calc coords, apply mask, and issue loads (if necessary) */
/* (d1,vc1,d0,vc0)=(5,1,0,0) */
_v_add_co_u32 v1, vcc, v1, 1                       // coord1.1: coord1Vgpr += d1*sg1*VW + vc1
GLOBAL_OFFSET_D 12, 0, 1, sgprWorkGroup2, 8
v_mov_b32 v8, v12                                  // temp store offset 0
v_mov_b32 v9, v13                                  // temp store offset 1
_v_add_co_u32 v12, vcc, v2, v8                     // addrVgpr = D + index*bytes (lo)
_v_addc_co_u32 v13, vcc, v3, v9, vcc               // addrVgpr = D + index*bytes (hi)
/* (d1,vc1,d0,vc0)=(5,1,1,0) */
_v_add_co_u32 v6, vcc, v0, 64                      // coord0.1: coord0 += d0*sg0*VW + vc0
GLOBAL_OFFSET_D 14, 6, 1, sgprWorkGroup2, 8
v_mov_b32 v8, v14                                  // temp store offset 0
v_mov_b32 v9, v15                                  // temp store offset 1
_v_add_co_u32 v14, vcc, v2, v8                     // addrVgpr = D + index*bytes (lo)
_v_addc_co_u32 v15, vcc, v3, v9, vcc               // addrVgpr = D + index*bytes (hi)
v_accvgpr_read_b32 v[vgprValuC+11], acc37 // copy acc to vreg[42]
v_accvgpr_read_b32 v[vgprValuC+16], acc53 // copy acc to vreg[43]
s_nop 1                                            // 2 wait states required before reading vgpr

/* rC *= alpha batchElements=[(5, 0, 1, 0), (5, 1, 1, 0)] */
v_mul_f32 v[vgprValuC+11], s[sgprAlpha], v[vgprValuC+11] // *= alpha
v_mul_f32 v[vgprValuC+16], s[sgprAlpha], v[vgprValuC+16] // *= alpha

/* apply mask, calc new C and issue writes */
_global_store_b32 v[12:13], v11, off               // store D
_global_store_b32 v[14:15], v16, off               // store D
s_nop 0                                            // 1 wait state required when next inst writes vgprs held by previous dwordx4 store inst
/* optSingleColVgpr=0 optSharedColVgpr=0 optSGPRUsage=None optSrdIncForRow=0 */

/******************************************/
/* Global Write Alpha Batch #22 (d1,d0,vc1,vc0) = */
/*    (5,0,2,0:vw1); (5,1,2,0:vw1)        */
/******************************************/

/* calc coords, apply mask, and issue loads (if necessary) */
/* (d1,vc1,d0,vc0)=(5,2,0,0) */
_v_add_co_u32 v1, vcc, v1, 1                       // coord1.1: coord1Vgpr += d1*sg1*VW + vc1
GLOBAL_OFFSET_D 12, 0, 1, sgprWorkGroup2, 8
v_mov_b32 v8, v12                                  // temp store offset 0
v_mov_b32 v9, v13                                  // temp store offset 1
_v_add_co_u32 v12, vcc, v2, v8                     // addrVgpr = D + index*bytes (lo)
_v_addc_co_u32 v13, vcc, v3, v9, vcc               // addrVgpr = D + index*bytes (hi)
/* (d1,vc1,d0,vc0)=(5,2,1,0) */
_v_add_co_u32 v6, vcc, v0, 64                      // coord0.1: coord0 += d0*sg0*VW + vc0
GLOBAL_OFFSET_D 14, 6, 1, sgprWorkGroup2, 8
v_mov_b32 v8, v14                                  // temp store offset 0
v_mov_b32 v9, v15                                  // temp store offset 1
_v_add_co_u32 v14, vcc, v2, v8                     // addrVgpr = D + index*bytes (lo)
_v_addc_co_u32 v15, vcc, v3, v9, vcc               // addrVgpr = D + index*bytes (hi)
v_accvgpr_read_b32 v[vgprValuC+11], acc38 // copy acc to vreg[44]
v_accvgpr_read_b32 v[vgprValuC+16], acc54 // copy acc to vreg[45]
s_nop 1                                            // 2 wait states required before reading vgpr

/* rC *= alpha batchElements=[(5, 0, 2, 0), (5, 1, 2, 0)] */
v_mul_f32 v[vgprValuC+11], s[sgprAlpha], v[vgprValuC+11] // *= alpha
v_mul_f32 v[vgprValuC+16], s[sgprAlpha], v[vgprValuC+16] // *= alpha

/* apply mask, calc new C and issue writes */
_global_store_b32 v[12:13], v11, off               // store D
_global_store_b32 v[14:15], v16, off               // store D
s_nop 0                                            // 1 wait state required when next inst writes vgprs held by previous dwordx4 store inst
/* optSingleColVgpr=0 optSharedColVgpr=0 optSGPRUsage=None optSrdIncForRow=0 */

/******************************************/
/* Global Write Alpha Batch #23 (d1,d0,vc1,vc0) = */
/*    (5,0,3,0:vw1); (5,1,3,0:vw1)        */
/******************************************/

/* calc coords, apply mask, and issue loads (if necessary) */
/* (d1,vc1,d0,vc0)=(5,3,0,0) */
_v_add_co_u32 v1, vcc, v1, 1                       // coord1.1: coord1Vgpr += d1*sg1*VW + vc1
GLOBAL_OFFSET_D 12, 0, 1, sgprWorkGroup2, 8
v_mov_b32 v8, v12                                  // temp store offset 0
v_mov_b32 v9, v13                                  // temp store offset 1
_v_add_co_u32 v12, vcc, v2, v8                     // addrVgpr = D + index*bytes (lo)
_v_addc_co_u32 v13, vcc, v3, v9, vcc               // addrVgpr = D + index*bytes (hi)
/* (d1,vc1,d0,vc0)=(5,3,1,0) */
_v_add_co_u32 v6, vcc, v0, 64                      // coord0.1: coord0 += d0*sg0*VW + vc0
GLOBAL_OFFSET_D 14, 6, 1, sgprWorkGroup2, 8
v_mov_b32 v8, v14                                  // temp store offset 0
v_mov_b32 v9, v15                                  // temp store offset 1
_v_add_co_u32 v14, vcc, v2, v8                     // addrVgpr = D + index*bytes (lo)
_v_addc_co_u32 v15, vcc, v3, v9, vcc               // addrVgpr = D + index*bytes (hi)
v_accvgpr_read_b32 v[vgprValuC+11], acc39 // copy acc to vreg[46]
v_accvgpr_read_b32 v[vgprValuC+16], acc55 // copy acc to vreg[47]
s_nop 1                                            // 2 wait states required before reading vgpr

/* rC *= alpha batchElements=[(5, 0, 3, 0), (5, 1, 3, 0)] */
v_mul_f32 v[vgprValuC+11], s[sgprAlpha], v[vgprValuC+11] // *= alpha
v_mul_f32 v[vgprValuC+16], s[sgprAlpha], v[vgprValuC+16] // *= alpha

/* apply mask, calc new C and issue writes */
_global_store_b32 v[12:13], v11, off               // store D
_global_store_b32 v[14:15], v16, off               // store D
s_nop 0                                            // 1 wait state required when next inst writes vgprs held by previous dwordx4 store inst
/* optSingleColVgpr=0 optSharedColVgpr=0 optSGPRUsage=None optSrdIncForRow=0 */

/******************************************/
/* Global Write Alpha Batch #24 (d1,d0,vc1,vc0) = */
/*    (6,0,0,0:vw1); (6,1,0,0:vw1)        */
/******************************************/

/* calc coords, apply mask, and issue loads (if necessary) */
/* (d1,vc1,d0,vc0)=(6,0,0,0) */
_v_add_co_u32 v1, vcc, v1, 5                       // coord1.1: coord1Vgpr += d1*sg1*VW + vc1
GLOBAL_OFFSET_D 12, 0, 1, sgprWorkGroup2, 8
v_mov_b32 v8, v12                                  // temp store offset 0
v_mov_b32 v9, v13                                  // temp store offset 1
_v_add_co_u32 v12, vcc, v2, v8                     // addrVgpr = D + index*bytes (lo)
_v_addc_co_u32 v13, vcc, v3, v9, vcc               // addrVgpr = D + index*bytes (hi)
/* (d1,vc1,d0,vc0)=(6,0,1,0) */
_v_add_co_u32 v6, vcc, v0, 64                      // coord0.1: coord0 += d0*sg0*VW + vc0
GLOBAL_OFFSET_D 14, 6, 1, sgprWorkGroup2, 8
v_mov_b32 v8, v14                                  // temp store offset 0
v_mov_b32 v9, v15                                  // temp store offset 1
_v_add_co_u32 v14, vcc, v2, v8                     // addrVgpr = D + index*bytes (lo)
_v_addc_co_u32 v15, vcc, v3, v9, vcc               // addrVgpr = D + index*bytes (hi)
v_accvgpr_read_b32 v[vgprValuC+11], acc40 // copy acc to vreg[48]
v_accvgpr_read_b32 v[vgprValuC+16], acc56 // copy acc to vreg[49]
s_nop 1                                            // 2 wait states required before reading vgpr

/* rC *= alpha batchElements=[(6, 0, 0, 0), (6, 1, 0, 0)] */
v_mul_f32 v[vgprValuC+11], s[sgprAlpha], v[vgprValuC+11] // *= alpha
v_mul_f32 v[vgprValuC+16], s[sgprAlpha], v[vgprValuC+16] // *= alpha

/* apply mask, calc new C and issue writes */
_global_store_b32 v[12:13], v11, off               // store D
_global_store_b32 v[14:15], v16, off               // store D
s_nop 0                                            // 1 wait state required when next inst writes vgprs held by previous dwordx4 store inst
/* optSingleColVgpr=0 optSharedColVgpr=0 optSGPRUsage=None optSrdIncForRow=0 */

/******************************************/
/* Global Write Alpha Batch #25 (d1,d0,vc1,vc0) = */
/*    (6,0,1,0:vw1); (6,1,1,0:vw1)        */
/******************************************/

/* calc coords, apply mask, and issue loads (if necessary) */
/* (d1,vc1,d0,vc0)=(6,1,0,0) */
_v_add_co_u32 v1, vcc, v1, 1                       // coord1.1: coord1Vgpr += d1*sg1*VW + vc1
GLOBAL_OFFSET_D 12, 0, 1, sgprWorkGroup2, 8
v_mov_b32 v8, v12                                  // temp store offset 0
v_mov_b32 v9, v13                                  // temp store offset 1
_v_add_co_u32 v12, vcc, v2, v8                     // addrVgpr = D + index*bytes (lo)
_v_addc_co_u32 v13, vcc, v3, v9, vcc               // addrVgpr = D + index*bytes (hi)
/* (d1,vc1,d0,vc0)=(6,1,1,0) */
_v_add_co_u32 v6, vcc, v0, 64                      // coord0.1: coord0 += d0*sg0*VW + vc0
GLOBAL_OFFSET_D 14, 6, 1, sgprWorkGroup2, 8
v_mov_b32 v8, v14                                  // temp store offset 0
v_mov_b32 v9, v15                                  // temp store offset 1
_v_add_co_u32 v14, vcc, v2, v8                     // addrVgpr = D + index*bytes (lo)
_v_addc_co_u32 v15, vcc, v3, v9, vcc               // addrVgpr = D + index*bytes (hi)
v_accvgpr_read_b32 v[vgprValuC+11], acc41 // copy acc to vreg[50]
v_accvgpr_read_b32 v[vgprValuC+16], acc57 // copy acc to vreg[51]
s_nop 1                                            // 2 wait states required before reading vgpr

/* rC *= alpha batchElements=[(6, 0, 1, 0), (6, 1, 1, 0)] */
v_mul_f32 v[vgprValuC+11], s[sgprAlpha], v[vgprValuC+11] // *= alpha
v_mul_f32 v[vgprValuC+16], s[sgprAlpha], v[vgprValuC+16] // *= alpha

/* apply mask, calc new C and issue writes */
_global_store_b32 v[12:13], v11, off               // store D
_global_store_b32 v[14:15], v16, off               // store D
s_nop 0                                            // 1 wait state required when next inst writes vgprs held by previous dwordx4 store inst
/* optSingleColVgpr=0 optSharedColVgpr=0 optSGPRUsage=None optSrdIncForRow=0 */

/******************************************/
/* Global Write Alpha Batch #26 (d1,d0,vc1,vc0) = */
/*    (6,0,2,0:vw1); (6,1,2,0:vw1)        */
/******************************************/

/* calc coords, apply mask, and issue loads (if necessary) */
/* (d1,vc1,d0,vc0)=(6,2,0,0) */
_v_add_co_u32 v1, vcc, v1, 1                       // coord1.1: coord1Vgpr += d1*sg1*VW + vc1
GLOBAL_OFFSET_D 12, 0, 1, sgprWorkGroup2, 8
v_mov_b32 v8, v12                                  // temp store offset 0
v_mov_b32 v9, v13                                  // temp store offset 1
_v_add_co_u32 v12, vcc, v2, v8                     // addrVgpr = D + index*bytes (lo)
_v_addc_co_u32 v13, vcc, v3, v9, vcc               // addrVgpr = D + index*bytes (hi)
/* (d1,vc1,d0,vc0)=(6,2,1,0) */
_v_add_co_u32 v6, vcc, v0, 64                      // coord0.1: coord0 += d0*sg0*VW + vc0
GLOBAL_OFFSET_D 14, 6, 1, sgprWorkGroup2, 8
v_mov_b32 v8, v14                                  // temp store offset 0
v_mov_b32 v9, v15                                  // temp store offset 1
_v_add_co_u32 v14, vcc, v2, v8                     // addrVgpr = D + index*bytes (lo)
_v_addc_co_u32 v15, vcc, v3, v9, vcc               // addrVgpr = D + index*bytes (hi)
v_accvgpr_read_b32 v[vgprValuC+11], acc42 // copy acc to vreg[52]
v_accvgpr_read_b32 v[vgprValuC+16], acc58 // copy acc to vreg[53]
s_nop 1                                            // 2 wait states required before reading vgpr

/* rC *= alpha batchElements=[(6, 0, 2, 0), (6, 1, 2, 0)] */
v_mul_f32 v[vgprValuC+11], s[sgprAlpha], v[vgprValuC+11] // *= alpha
v_mul_f32 v[vgprValuC+16], s[sgprAlpha], v[vgprValuC+16] // *= alpha

/* apply mask, calc new C and issue writes */
_global_store_b32 v[12:13], v11, off               // store D
_global_store_b32 v[14:15], v16, off               // store D
s_nop 0                                            // 1 wait state required when next inst writes vgprs held by previous dwordx4 store inst
/* optSingleColVgpr=0 optSharedColVgpr=0 optSGPRUsage=None optSrdIncForRow=0 */

/******************************************/
/* Global Write Alpha Batch #27 (d1,d0,vc1,vc0) = */
/*    (6,0,3,0:vw1); (6,1,3,0:vw1)        */
/******************************************/

/* calc coords, apply mask, and issue loads (if necessary) */
/* (d1,vc1,d0,vc0)=(6,3,0,0) */
_v_add_co_u32 v1, vcc, v1, 1                       // coord1.1: coord1Vgpr += d1*sg1*VW + vc1
GLOBAL_OFFSET_D 12, 0, 1, sgprWorkGroup2, 8
v_mov_b32 v8, v12                                  // temp store offset 0
v_mov_b32 v9, v13                                  // temp store offset 1
_v_add_co_u32 v12, vcc, v2, v8                     // addrVgpr = D + index*bytes (lo)
_v_addc_co_u32 v13, vcc, v3, v9, vcc               // addrVgpr = D + index*bytes (hi)
/* (d1,vc1,d0,vc0)=(6,3,1,0) */
_v_add_co_u32 v6, vcc, v0, 64                      // coord0.1: coord0 += d0*sg0*VW + vc0
GLOBAL_OFFSET_D 14, 6, 1, sgprWorkGroup2, 8
v_mov_b32 v8, v14                                  // temp store offset 0
v_mov_b32 v9, v15                                  // temp store offset 1
_v_add_co_u32 v14, vcc, v2, v8                     // addrVgpr = D + index*bytes (lo)
_v_addc_co_u32 v15, vcc, v3, v9, vcc               // addrVgpr = D + index*bytes (hi)
v_accvgpr_read_b32 v[vgprValuC+11], acc43 // copy acc to vreg[54]
v_accvgpr_read_b32 v[vgprValuC+16], acc59 // copy acc to vreg[55]
s_nop 1                                            // 2 wait states required before reading vgpr

/* rC *= alpha batchElements=[(6, 0, 3, 0), (6, 1, 3, 0)] */
v_mul_f32 v[vgprValuC+11], s[sgprAlpha], v[vgprValuC+11] // *= alpha
v_mul_f32 v[vgprValuC+16], s[sgprAlpha], v[vgprValuC+16] // *= alpha

/* apply mask, calc new C and issue writes */
_global_store_b32 v[12:13], v11, off               // store D
_global_store_b32 v[14:15], v16, off               // store D
s_nop 0                                            // 1 wait state required when next inst writes vgprs held by previous dwordx4 store inst
/* optSingleColVgpr=0 optSharedColVgpr=0 optSGPRUsage=None optSrdIncForRow=0 */

/******************************************/
/* Global Write Alpha Batch #28 (d1,d0,vc1,vc0) = */
/*    (7,0,0,0:vw1); (7,1,0,0:vw1)        */
/******************************************/

/* calc coords, apply mask, and issue loads (if necessary) */
/* (d1,vc1,d0,vc0)=(7,0,0,0) */
_v_add_co_u32 v1, vcc, v1, 5                       // coord1.1: coord1Vgpr += d1*sg1*VW + vc1
GLOBAL_OFFSET_D 12, 0, 1, sgprWorkGroup2, 8
v_mov_b32 v8, v12                                  // temp store offset 0
v_mov_b32 v9, v13                                  // temp store offset 1
_v_add_co_u32 v12, vcc, v2, v8                     // addrVgpr = D + index*bytes (lo)
_v_addc_co_u32 v13, vcc, v3, v9, vcc               // addrVgpr = D + index*bytes (hi)
/* (d1,vc1,d0,vc0)=(7,0,1,0) */
_v_add_co_u32 v6, vcc, v0, 64                      // coord0.1: coord0 += d0*sg0*VW + vc0
GLOBAL_OFFSET_D 14, 6, 1, sgprWorkGroup2, 8
v_mov_b32 v8, v14                                  // temp store offset 0
v_mov_b32 v9, v15                                  // temp store offset 1
_v_add_co_u32 v14, vcc, v2, v8                     // addrVgpr = D + index*bytes (lo)
_v_addc_co_u32 v15, vcc, v3, v9, vcc               // addrVgpr = D + index*bytes (hi)
v_accvgpr_read_b32 v[vgprValuC+11], acc44 // copy acc to vreg[56]
v_accvgpr_read_b32 v[vgprValuC+16], acc60 // copy acc to vreg[57]
s_nop 1                                            // 2 wait states required before reading vgpr

/* rC *= alpha batchElements=[(7, 0, 0, 0), (7, 1, 0, 0)] */
v_mul_f32 v[vgprValuC+11], s[sgprAlpha], v[vgprValuC+11] // *= alpha
v_mul_f32 v[vgprValuC+16], s[sgprAlpha], v[vgprValuC+16] // *= alpha

/* apply mask, calc new C and issue writes */
_global_store_b32 v[12:13], v11, off               // store D
_global_store_b32 v[14:15], v16, off               // store D
s_nop 0                                            // 1 wait state required when next inst writes vgprs held by previous dwordx4 store inst
/* optSingleColVgpr=0 optSharedColVgpr=0 optSGPRUsage=None optSrdIncForRow=0 */

/******************************************/
/* Global Write Alpha Batch #29 (d1,d0,vc1,vc0) = */
/*    (7,0,1,0:vw1); (7,1,1,0:vw1)        */
/******************************************/

/* calc coords, apply mask, and issue loads (if necessary) */
/* (d1,vc1,d0,vc0)=(7,1,0,0) */
_v_add_co_u32 v1, vcc, v1, 1                       // coord1.1: coord1Vgpr += d1*sg1*VW + vc1
GLOBAL_OFFSET_D 12, 0, 1, sgprWorkGroup2, 8
v_mov_b32 v8, v12                                  // temp store offset 0
v_mov_b32 v9, v13                                  // temp store offset 1
_v_add_co_u32 v12, vcc, v2, v8                     // addrVgpr = D + index*bytes (lo)
_v_addc_co_u32 v13, vcc, v3, v9, vcc               // addrVgpr = D + index*bytes (hi)
/* (d1,vc1,d0,vc0)=(7,1,1,0) */
_v_add_co_u32 v6, vcc, v0, 64                      // coord0.1: coord0 += d0*sg0*VW + vc0
GLOBAL_OFFSET_D 14, 6, 1, sgprWorkGroup2, 8
v_mov_b32 v8, v14                                  // temp store offset 0
v_mov_b32 v9, v15                                  // temp store offset 1
_v_add_co_u32 v14, vcc, v2, v8                     // addrVgpr = D + index*bytes (lo)
_v_addc_co_u32 v15, vcc, v3, v9, vcc               // addrVgpr = D + index*bytes (hi)
v_accvgpr_read_b32 v[vgprValuC+11], acc45 // copy acc to vreg[58]
v_accvgpr_read_b32 v[vgprValuC+16], acc61 // copy acc to vreg[59]
s_nop 1                                            // 2 wait states required before reading vgpr

/* rC *= alpha batchElements=[(7, 0, 1, 0), (7, 1, 1, 0)] */
v_mul_f32 v[vgprValuC+11], s[sgprAlpha], v[vgprValuC+11] // *= alpha
v_mul_f32 v[vgprValuC+16], s[sgprAlpha], v[vgprValuC+16] // *= alpha

/* apply mask, calc new C and issue writes */
_global_store_b32 v[12:13], v11, off               // store D
_global_store_b32 v[14:15], v16, off               // store D
s_nop 0                                            // 1 wait state required when next inst writes vgprs held by previous dwordx4 store inst
/* optSingleColVgpr=0 optSharedColVgpr=0 optSGPRUsage=None optSrdIncForRow=0 */

/******************************************/
/* Global Write Alpha Batch #30 (d1,d0,vc1,vc0) = */
/*    (7,0,2,0:vw1); (7,1,2,0:vw1)        */
/******************************************/

/* calc coords, apply mask, and issue loads (if necessary) */
/* (d1,vc1,d0,vc0)=(7,2,0,0) */
_v_add_co_u32 v1, vcc, v1, 1                       // coord1.1: coord1Vgpr += d1*sg1*VW + vc1
GLOBAL_OFFSET_D 12, 0, 1, sgprWorkGroup2, 8
v_mov_b32 v8, v12                                  // temp store offset 0
v_mov_b32 v9, v13                                  // temp store offset 1
_v_add_co_u32 v12, vcc, v2, v8                     // addrVgpr = D + index*bytes (lo)
_v_addc_co_u32 v13, vcc, v3, v9, vcc               // addrVgpr = D + index*bytes (hi)
/* (d1,vc1,d0,vc0)=(7,2,1,0) */
_v_add_co_u32 v6, vcc, v0, 64                      // coord0.1: coord0 += d0*sg0*VW + vc0
GLOBAL_OFFSET_D 14, 6, 1, sgprWorkGroup2, 8
v_mov_b32 v8, v14                                  // temp store offset 0
v_mov_b32 v9, v15                                  // temp store offset 1
_v_add_co_u32 v14, vcc, v2, v8                     // addrVgpr = D + index*bytes (lo)
_v_addc_co_u32 v15, vcc, v3, v9, vcc               // addrVgpr = D + index*bytes (hi)
v_accvgpr_read_b32 v[vgprValuC+11], acc46 // copy acc to vreg[60]
v_accvgpr_read_b32 v[vgprValuC+16], acc62 // copy acc to vreg[61]
s_nop 1                                            // 2 wait states required before reading vgpr

/* rC *= alpha batchElements=[(7, 0, 2, 0), (7, 1, 2, 0)] */
v_mul_f32 v[vgprValuC+11], s[sgprAlpha], v[vgprValuC+11] // *= alpha
v_mul_f32 v[vgprValuC+16], s[sgprAlpha], v[vgprValuC+16] // *= alpha

/* apply mask, calc new C and issue writes */
_global_store_b32 v[12:13], v11, off               // store D
_global_store_b32 v[14:15], v16, off               // store D
s_nop 0                                            // 1 wait state required when next inst writes vgprs held by previous dwordx4 store inst
/* optSingleColVgpr=0 optSharedColVgpr=0 optSGPRUsage=None optSrdIncForRow=0 */

/******************************************/
/* Global Write Alpha Batch #31 (d1,d0,vc1,vc0) = */
/*    (7,0,3,0:vw1); (7,1,3,0:vw1)        */
/******************************************/

/* calc coords, apply mask, and issue loads (if necessary) */
/* (d1,vc1,d0,vc0)=(7,3,0,0) */
_v_add_co_u32 v1, vcc, v1, 1                       // coord1.1: coord1Vgpr += d1*sg1*VW + vc1
GLOBAL_OFFSET_D 12, 0, 1, sgprWorkGroup2, 8
v_mov_b32 v8, v12                                  // temp store offset 0
v_mov_b32 v9, v13                                  // temp store offset 1
_v_add_co_u32 v12, vcc, v2, v8                     // addrVgpr = D + index*bytes (lo)
_v_addc_co_u32 v13, vcc, v3, v9, vcc               // addrVgpr = D + index*bytes (hi)
/* (d1,vc1,d0,vc0)=(7,3,1,0) */
_v_add_co_u32 v6, vcc, v0, 64                      // coord0.1: coord0 += d0*sg0*VW + vc0
GLOBAL_OFFSET_D 14, 6, 1, sgprWorkGroup2, 8
v_mov_b32 v8, v14                                  // temp store offset 0
v_mov_b32 v9, v15                                  // temp store offset 1
_v_add_co_u32 v14, vcc, v2, v8                     // addrVgpr = D + index*bytes (lo)
_v_addc_co_u32 v15, vcc, v3, v9, vcc               // addrVgpr = D + index*bytes (hi)
v_accvgpr_read_b32 v[vgprValuC+11], acc47 // copy acc to vreg[62]
v_accvgpr_read_b32 v[vgprValuC+16], acc63 // copy acc to vreg[63]
s_nop 1                                            // 2 wait states required before reading vgpr

/* rC *= alpha batchElements=[(7, 0, 3, 0), (7, 1, 3, 0)] */
v_mul_f32 v[vgprValuC+11], s[sgprAlpha], v[vgprValuC+11] // *= alpha
v_mul_f32 v[vgprValuC+16], s[sgprAlpha], v[vgprValuC+16] // *= alpha

/* apply mask, calc new C and issue writes */
_global_store_b32 v[12:13], v11, off               // store D
_global_store_b32 v[14:15], v16, off               // store D
s_nop 0                                            // 1 wait state required when next inst writes vgprs held by previous dwordx4 store inst
s_branch label_GW_End_32                           // jump to end
GW_B0_E1_24:

/* edge=1, allocate 8 sgpr. perBatchTmpS=4 perBatchMaskS=0 perElementMaskS=2 elementsPerBatch=2 */
/* optSingleColVgpr=0 optSharedColVgpr=0 optSGPRUsage=None optSrdIncForRow=0 */

/******************************************/
/* Global Write Alpha Edge Batch #0 (d1,d0,vc1,vc0) = */
/*    (0,0,0,0:vw1); (0,1,0,0:vw1)        */
/******************************************/

/* calc coords, apply mask, and issue loads (if necessary) */
/* (d1,vc1,d0,vc0)=(0,0,0,0) */
GLOBAL_OFFSET_D 12, 0, 1, sgprWorkGroup2, 8
v_mov_b32 v8, v12                                  // temp store offset 0
v_mov_b32 v9, v13                                  // temp store offset 1
v_cmp_lt_u32 s[36:37], v0, s[sgprSizesFree+0]      // coord0 < size0
v_cmp_lt_u32 s[38:39], v1, s[sgprSizesFree+1]      // coord1 < size1
s_and_b64 s[40:41], s[36:37], s[38:39]             // in0 && in1
_v_add_co_u32 v12, vcc, v2, v8                     // addrVgpr = D + index*bytes (lo)
_v_addc_co_u32 v13, vcc, v3, v9, vcc               // addrVgpr = D + index*bytes (hi)
/* (d1,vc1,d0,vc0)=(0,0,1,0) */
_v_add_co_u32 v6, vcc, v0, 64                      // coord0.1: coord0 += d0*sg0*VW + vc0
GLOBAL_OFFSET_D 14, 6, 1, sgprWorkGroup2, 8
v_mov_b32 v8, v14                                  // temp store offset 0
v_mov_b32 v9, v15                                  // temp store offset 1
v_cmp_lt_u32 s[36:37], v6, s[sgprSizesFree+0]      // coord0 < size0
v_cmp_lt_u32 s[38:39], v1, s[sgprSizesFree+1]      // coord1 < size1
s_and_b64 s[42:43], s[36:37], s[38:39]             // in0 && in1
_v_add_co_u32 v14, vcc, v2, v8                     // addrVgpr = D + index*bytes (lo)
_v_addc_co_u32 v15, vcc, v3, v9, vcc               // addrVgpr = D + index*bytes (hi)
v_accvgpr_read_b32 v[vgprValuC+11], acc0 // copy acc to vreg[0]
v_accvgpr_read_b32 v[vgprValuC+16], acc16 // copy acc to vreg[1]
s_nop 1                                            // 2 wait states required before reading vgpr

/* rC *= alpha batchElements=[(0, 0, 0, 0), (0, 1, 0, 0)] */
v_mul_f32 v[vgprValuC+11], s[sgprAlpha], v[vgprValuC+11] // *= alpha
v_mul_f32 v[vgprValuC+16], s[sgprAlpha], v[vgprValuC+16] // *= alpha

/* apply mask, calc new C and issue writes */
s_mov_b64 exec, s[40:41]                           // sgprs -> exec
_global_store_b32 v[12:13], v11, off               // store D
s_mov_b64 exec, s[42:43]                           // sgprs -> exec
_global_store_b32 v[14:15], v16, off               // store D
s_mov_b64 exec, -1                                 // full mask -> exec
s_nop 0                                            // 1 wait state required when next inst writes vgprs held by previous dwordx4 store inst
/* optSingleColVgpr=0 optSharedColVgpr=0 optSGPRUsage=None optSrdIncForRow=0 */

/******************************************/
/* Global Write Alpha Edge Batch #1 (d1,d0,vc1,vc0) = */
/*    (0,0,1,0:vw1); (0,1,1,0:vw1)        */
/******************************************/

/* calc coords, apply mask, and issue loads (if necessary) */
/* (d1,vc1,d0,vc0)=(0,1,0,0) */
_v_add_co_u32 v1, vcc, v1, 1                       // coord1.1: coord1Vgpr += d1*sg1*VW + vc1
GLOBAL_OFFSET_D 12, 0, 1, sgprWorkGroup2, 8
v_mov_b32 v8, v12                                  // temp store offset 0
v_mov_b32 v9, v13                                  // temp store offset 1
v_cmp_lt_u32 s[36:37], v0, s[sgprSizesFree+0]      // coord0 < size0
v_cmp_lt_u32 s[38:39], v1, s[sgprSizesFree+1]      // coord1 < size1
s_and_b64 s[40:41], s[36:37], s[38:39]             // in0 && in1
_v_add_co_u32 v12, vcc, v2, v8                     // addrVgpr = D + index*bytes (lo)
_v_addc_co_u32 v13, vcc, v3, v9, vcc               // addrVgpr = D + index*bytes (hi)
/* (d1,vc1,d0,vc0)=(0,1,1,0) */
_v_add_co_u32 v6, vcc, v0, 64                      // coord0.1: coord0 += d0*sg0*VW + vc0
GLOBAL_OFFSET_D 14, 6, 1, sgprWorkGroup2, 8
v_mov_b32 v8, v14                                  // temp store offset 0
v_mov_b32 v9, v15                                  // temp store offset 1
v_cmp_lt_u32 s[36:37], v6, s[sgprSizesFree+0]      // coord0 < size0
v_cmp_lt_u32 s[38:39], v1, s[sgprSizesFree+1]      // coord1 < size1
s_and_b64 s[42:43], s[36:37], s[38:39]             // in0 && in1
_v_add_co_u32 v14, vcc, v2, v8                     // addrVgpr = D + index*bytes (lo)
_v_addc_co_u32 v15, vcc, v3, v9, vcc               // addrVgpr = D + index*bytes (hi)
v_accvgpr_read_b32 v[vgprValuC+11], acc1 // copy acc to vreg[2]
v_accvgpr_read_b32 v[vgprValuC+16], acc17 // copy acc to vreg[3]
s_nop 1                                            // 2 wait states required before reading vgpr

/* rC *= alpha batchElements=[(0, 0, 1, 0), (0, 1, 1, 0)] */
v_mul_f32 v[vgprValuC+11], s[sgprAlpha], v[vgprValuC+11] // *= alpha
v_mul_f32 v[vgprValuC+16], s[sgprAlpha], v[vgprValuC+16] // *= alpha

/* apply mask, calc new C and issue writes */
s_mov_b64 exec, s[40:41]                           // sgprs -> exec
_global_store_b32 v[12:13], v11, off               // store D
s_mov_b64 exec, s[42:43]                           // sgprs -> exec
_global_store_b32 v[14:15], v16, off               // store D
s_mov_b64 exec, -1                                 // full mask -> exec
s_nop 0                                            // 1 wait state required when next inst writes vgprs held by previous dwordx4 store inst
/* optSingleColVgpr=0 optSharedColVgpr=0 optSGPRUsage=None optSrdIncForRow=0 */

/******************************************/
/* Global Write Alpha Edge Batch #2 (d1,d0,vc1,vc0) = */
/*    (0,0,2,0:vw1); (0,1,2,0:vw1)        */
/******************************************/

/* calc coords, apply mask, and issue loads (if necessary) */
/* (d1,vc1,d0,vc0)=(0,2,0,0) */
_v_add_co_u32 v1, vcc, v1, 1                       // coord1.1: coord1Vgpr += d1*sg1*VW + vc1
GLOBAL_OFFSET_D 12, 0, 1, sgprWorkGroup2, 8
v_mov_b32 v8, v12                                  // temp store offset 0
v_mov_b32 v9, v13                                  // temp store offset 1
v_cmp_lt_u32 s[36:37], v0, s[sgprSizesFree+0]      // coord0 < size0
v_cmp_lt_u32 s[38:39], v1, s[sgprSizesFree+1]      // coord1 < size1
s_and_b64 s[40:41], s[36:37], s[38:39]             // in0 && in1
_v_add_co_u32 v12, vcc, v2, v8                     // addrVgpr = D + index*bytes (lo)
_v_addc_co_u32 v13, vcc, v3, v9, vcc               // addrVgpr = D + index*bytes (hi)
/* (d1,vc1,d0,vc0)=(0,2,1,0) */
_v_add_co_u32 v6, vcc, v0, 64                      // coord0.1: coord0 += d0*sg0*VW + vc0
GLOBAL_OFFSET_D 14, 6, 1, sgprWorkGroup2, 8
v_mov_b32 v8, v14                                  // temp store offset 0
v_mov_b32 v9, v15                                  // temp store offset 1
v_cmp_lt_u32 s[36:37], v6, s[sgprSizesFree+0]      // coord0 < size0
v_cmp_lt_u32 s[38:39], v1, s[sgprSizesFree+1]      // coord1 < size1
s_and_b64 s[42:43], s[36:37], s[38:39]             // in0 && in1
_v_add_co_u32 v14, vcc, v2, v8                     // addrVgpr = D + index*bytes (lo)
_v_addc_co_u32 v15, vcc, v3, v9, vcc               // addrVgpr = D + index*bytes (hi)
v_accvgpr_read_b32 v[vgprValuC+11], acc2 // copy acc to vreg[4]
v_accvgpr_read_b32 v[vgprValuC+16], acc18 // copy acc to vreg[5]
s_nop 1                                            // 2 wait states required before reading vgpr

/* rC *= alpha batchElements=[(0, 0, 2, 0), (0, 1, 2, 0)] */
v_mul_f32 v[vgprValuC+11], s[sgprAlpha], v[vgprValuC+11] // *= alpha
v_mul_f32 v[vgprValuC+16], s[sgprAlpha], v[vgprValuC+16] // *= alpha

/* apply mask, calc new C and issue writes */
s_mov_b64 exec, s[40:41]                           // sgprs -> exec
_global_store_b32 v[12:13], v11, off               // store D
s_mov_b64 exec, s[42:43]                           // sgprs -> exec
_global_store_b32 v[14:15], v16, off               // store D
s_mov_b64 exec, -1                                 // full mask -> exec
s_nop 0                                            // 1 wait state required when next inst writes vgprs held by previous dwordx4 store inst
/* optSingleColVgpr=0 optSharedColVgpr=0 optSGPRUsage=None optSrdIncForRow=0 */

/******************************************/
/* Global Write Alpha Edge Batch #3 (d1,d0,vc1,vc0) = */
/*    (0,0,3,0:vw1); (0,1,3,0:vw1)        */
/******************************************/

/* calc coords, apply mask, and issue loads (if necessary) */
/* (d1,vc1,d0,vc0)=(0,3,0,0) */
_v_add_co_u32 v1, vcc, v1, 1                       // coord1.1: coord1Vgpr += d1*sg1*VW + vc1
GLOBAL_OFFSET_D 12, 0, 1, sgprWorkGroup2, 8
v_mov_b32 v8, v12                                  // temp store offset 0
v_mov_b32 v9, v13                                  // temp store offset 1
v_cmp_lt_u32 s[36:37], v0, s[sgprSizesFree+0]      // coord0 < size0
v_cmp_lt_u32 s[38:39], v1, s[sgprSizesFree+1]      // coord1 < size1
s_and_b64 s[40:41], s[36:37], s[38:39]             // in0 && in1
_v_add_co_u32 v12, vcc, v2, v8                     // addrVgpr = D + index*bytes (lo)
_v_addc_co_u32 v13, vcc, v3, v9, vcc               // addrVgpr = D + index*bytes (hi)
/* (d1,vc1,d0,vc0)=(0,3,1,0) */
_v_add_co_u32 v6, vcc, v0, 64                      // coord0.1: coord0 += d0*sg0*VW + vc0
GLOBAL_OFFSET_D 14, 6, 1, sgprWorkGroup2, 8
v_mov_b32 v8, v14                                  // temp store offset 0
v_mov_b32 v9, v15                                  // temp store offset 1
v_cmp_lt_u32 s[36:37], v6, s[sgprSizesFree+0]      // coord0 < size0
v_cmp_lt_u32 s[38:39], v1, s[sgprSizesFree+1]      // coord1 < size1
s_and_b64 s[42:43], s[36:37], s[38:39]             // in0 && in1
_v_add_co_u32 v14, vcc, v2, v8                     // addrVgpr = D + index*bytes (lo)
_v_addc_co_u32 v15, vcc, v3, v9, vcc               // addrVgpr = D + index*bytes (hi)
v_accvgpr_read_b32 v[vgprValuC+11], acc3 // copy acc to vreg[6]
v_accvgpr_read_b32 v[vgprValuC+16], acc19 // copy acc to vreg[7]
s_nop 1                                            // 2 wait states required before reading vgpr

/* rC *= alpha batchElements=[(0, 0, 3, 0), (0, 1, 3, 0)] */
v_mul_f32 v[vgprValuC+11], s[sgprAlpha], v[vgprValuC+11] // *= alpha
v_mul_f32 v[vgprValuC+16], s[sgprAlpha], v[vgprValuC+16] // *= alpha

/* apply mask, calc new C and issue writes */
s_mov_b64 exec, s[40:41]                           // sgprs -> exec
_global_store_b32 v[12:13], v11, off               // store D
s_mov_b64 exec, s[42:43]                           // sgprs -> exec
_global_store_b32 v[14:15], v16, off               // store D
s_mov_b64 exec, -1                                 // full mask -> exec
s_nop 0                                            // 1 wait state required when next inst writes vgprs held by previous dwordx4 store inst
/* optSingleColVgpr=0 optSharedColVgpr=0 optSGPRUsage=None optSrdIncForRow=0 */

/******************************************/
/* Global Write Alpha Edge Batch #4 (d1,d0,vc1,vc0) = */
/*    (1,0,0,0:vw1); (1,1,0,0:vw1)        */
/******************************************/

/* calc coords, apply mask, and issue loads (if necessary) */
/* (d1,vc1,d0,vc0)=(1,0,0,0) */
_v_add_co_u32 v1, vcc, v1, 5                       // coord1.1: coord1Vgpr += d1*sg1*VW + vc1
GLOBAL_OFFSET_D 12, 0, 1, sgprWorkGroup2, 8
v_mov_b32 v8, v12                                  // temp store offset 0
v_mov_b32 v9, v13                                  // temp store offset 1
v_cmp_lt_u32 s[36:37], v0, s[sgprSizesFree+0]      // coord0 < size0
v_cmp_lt_u32 s[38:39], v1, s[sgprSizesFree+1]      // coord1 < size1
s_and_b64 s[40:41], s[36:37], s[38:39]             // in0 && in1
_v_add_co_u32 v12, vcc, v2, v8                     // addrVgpr = D + index*bytes (lo)
_v_addc_co_u32 v13, vcc, v3, v9, vcc               // addrVgpr = D + index*bytes (hi)
/* (d1,vc1,d0,vc0)=(1,0,1,0) */
_v_add_co_u32 v6, vcc, v0, 64                      // coord0.1: coord0 += d0*sg0*VW + vc0
GLOBAL_OFFSET_D 14, 6, 1, sgprWorkGroup2, 8
v_mov_b32 v8, v14                                  // temp store offset 0
v_mov_b32 v9, v15                                  // temp store offset 1
v_cmp_lt_u32 s[36:37], v6, s[sgprSizesFree+0]      // coord0 < size0
v_cmp_lt_u32 s[38:39], v1, s[sgprSizesFree+1]      // coord1 < size1
s_and_b64 s[42:43], s[36:37], s[38:39]             // in0 && in1
_v_add_co_u32 v14, vcc, v2, v8                     // addrVgpr = D + index*bytes (lo)
_v_addc_co_u32 v15, vcc, v3, v9, vcc               // addrVgpr = D + index*bytes (hi)
v_accvgpr_read_b32 v[vgprValuC+11], acc4 // copy acc to vreg[8]
v_accvgpr_read_b32 v[vgprValuC+16], acc20 // copy acc to vreg[9]
s_nop 1                                            // 2 wait states required before reading vgpr

/* rC *= alpha batchElements=[(1, 0, 0, 0), (1, 1, 0, 0)] */
v_mul_f32 v[vgprValuC+11], s[sgprAlpha], v[vgprValuC+11] // *= alpha
v_mul_f32 v[vgprValuC+16], s[sgprAlpha], v[vgprValuC+16] // *= alpha

/* apply mask, calc new C and issue writes */
s_mov_b64 exec, s[40:41]                           // sgprs -> exec
_global_store_b32 v[12:13], v11, off               // store D
s_mov_b64 exec, s[42:43]                           // sgprs -> exec
_global_store_b32 v[14:15], v16, off               // store D
s_mov_b64 exec, -1                                 // full mask -> exec
s_nop 0                                            // 1 wait state required when next inst writes vgprs held by previous dwordx4 store inst
/* optSingleColVgpr=0 optSharedColVgpr=0 optSGPRUsage=None optSrdIncForRow=0 */

/******************************************/
/* Global Write Alpha Edge Batch #5 (d1,d0,vc1,vc0) = */
/*    (1,0,1,0:vw1); (1,1,1,0:vw1)        */
/******************************************/

/* calc coords, apply mask, and issue loads (if necessary) */
/* (d1,vc1,d0,vc0)=(1,1,0,0) */
_v_add_co_u32 v1, vcc, v1, 1                       // coord1.1: coord1Vgpr += d1*sg1*VW + vc1
GLOBAL_OFFSET_D 12, 0, 1, sgprWorkGroup2, 8
v_mov_b32 v8, v12                                  // temp store offset 0
v_mov_b32 v9, v13                                  // temp store offset 1
v_cmp_lt_u32 s[36:37], v0, s[sgprSizesFree+0]      // coord0 < size0
v_cmp_lt_u32 s[38:39], v1, s[sgprSizesFree+1]      // coord1 < size1
s_and_b64 s[40:41], s[36:37], s[38:39]             // in0 && in1
_v_add_co_u32 v12, vcc, v2, v8                     // addrVgpr = D + index*bytes (lo)
_v_addc_co_u32 v13, vcc, v3, v9, vcc               // addrVgpr = D + index*bytes (hi)
/* (d1,vc1,d0,vc0)=(1,1,1,0) */
_v_add_co_u32 v6, vcc, v0, 64                      // coord0.1: coord0 += d0*sg0*VW + vc0
GLOBAL_OFFSET_D 14, 6, 1, sgprWorkGroup2, 8
v_mov_b32 v8, v14                                  // temp store offset 0
v_mov_b32 v9, v15                                  // temp store offset 1
v_cmp_lt_u32 s[36:37], v6, s[sgprSizesFree+0]      // coord0 < size0
v_cmp_lt_u32 s[38:39], v1, s[sgprSizesFree+1]      // coord1 < size1
s_and_b64 s[42:43], s[36:37], s[38:39]             // in0 && in1
_v_add_co_u32 v14, vcc, v2, v8                     // addrVgpr = D + index*bytes (lo)
_v_addc_co_u32 v15, vcc, v3, v9, vcc               // addrVgpr = D + index*bytes (hi)
v_accvgpr_read_b32 v[vgprValuC+11], acc5 // copy acc to vreg[10]
v_accvgpr_read_b32 v[vgprValuC+16], acc21 // copy acc to vreg[11]
s_nop 1                                            // 2 wait states required before reading vgpr

/* rC *= alpha batchElements=[(1, 0, 1, 0), (1, 1, 1, 0)] */
v_mul_f32 v[vgprValuC+11], s[sgprAlpha], v[vgprValuC+11] // *= alpha
v_mul_f32 v[vgprValuC+16], s[sgprAlpha], v[vgprValuC+16] // *= alpha

/* apply mask, calc new C and issue writes */
s_mov_b64 exec, s[40:41]                           // sgprs -> exec
_global_store_b32 v[12:13], v11, off               // store D
s_mov_b64 exec, s[42:43]                           // sgprs -> exec
_global_store_b32 v[14:15], v16, off               // store D
s_mov_b64 exec, -1                                 // full mask -> exec
s_nop 0                                            // 1 wait state required when next inst writes vgprs held by previous dwordx4 store inst
/* optSingleColVgpr=0 optSharedColVgpr=0 optSGPRUsage=None optSrdIncForRow=0 */

/******************************************/
/* Global Write Alpha Edge Batch #6 (d1,d0,vc1,vc0) = */
/*    (1,0,2,0:vw1); (1,1,2,0:vw1)        */
/******************************************/

/* calc coords, apply mask, and issue loads (if necessary) */
/* (d1,vc1,d0,vc0)=(1,2,0,0) */
_v_add_co_u32 v1, vcc, v1, 1                       // coord1.1: coord1Vgpr += d1*sg1*VW + vc1
GLOBAL_OFFSET_D 12, 0, 1, sgprWorkGroup2, 8
v_mov_b32 v8, v12                                  // temp store offset 0
v_mov_b32 v9, v13                                  // temp store offset 1
v_cmp_lt_u32 s[36:37], v0, s[sgprSizesFree+0]      // coord0 < size0
v_cmp_lt_u32 s[38:39], v1, s[sgprSizesFree+1]      // coord1 < size1
s_and_b64 s[40:41], s[36:37], s[38:39]             // in0 && in1
_v_add_co_u32 v12, vcc, v2, v8                     // addrVgpr = D + index*bytes (lo)
_v_addc_co_u32 v13, vcc, v3, v9, vcc               // addrVgpr = D + index*bytes (hi)
/* (d1,vc1,d0,vc0)=(1,2,1,0) */
_v_add_co_u32 v6, vcc, v0, 64                      // coord0.1: coord0 += d0*sg0*VW + vc0
GLOBAL_OFFSET_D 14, 6, 1, sgprWorkGroup2, 8
v_mov_b32 v8, v14                                  // temp store offset 0
v_mov_b32 v9, v15                                  // temp store offset 1
v_cmp_lt_u32 s[36:37], v6, s[sgprSizesFree+0]      // coord0 < size0
v_cmp_lt_u32 s[38:39], v1, s[sgprSizesFree+1]      // coord1 < size1
s_and_b64 s[42:43], s[36:37], s[38:39]             // in0 && in1
_v_add_co_u32 v14, vcc, v2, v8                     // addrVgpr = D + index*bytes (lo)
_v_addc_co_u32 v15, vcc, v3, v9, vcc               // addrVgpr = D + index*bytes (hi)
v_accvgpr_read_b32 v[vgprValuC+11], acc6 // copy acc to vreg[12]
v_accvgpr_read_b32 v[vgprValuC+16], acc22 // copy acc to vreg[13]
s_nop 1                                            // 2 wait states required before reading vgpr

/* rC *= alpha batchElements=[(1, 0, 2, 0), (1, 1, 2, 0)] */
v_mul_f32 v[vgprValuC+11], s[sgprAlpha], v[vgprValuC+11] // *= alpha
v_mul_f32 v[vgprValuC+16], s[sgprAlpha], v[vgprValuC+16] // *= alpha

/* apply mask, calc new C and issue writes */
s_mov_b64 exec, s[40:41]                           // sgprs -> exec
_global_store_b32 v[12:13], v11, off               // store D
s_mov_b64 exec, s[42:43]                           // sgprs -> exec
_global_store_b32 v[14:15], v16, off               // store D
s_mov_b64 exec, -1                                 // full mask -> exec
s_nop 0                                            // 1 wait state required when next inst writes vgprs held by previous dwordx4 store inst
/* optSingleColVgpr=0 optSharedColVgpr=0 optSGPRUsage=None optSrdIncForRow=0 */

/******************************************/
/* Global Write Alpha Edge Batch #7 (d1,d0,vc1,vc0) = */
/*    (1,0,3,0:vw1); (1,1,3,0:vw1)        */
/******************************************/

/* calc coords, apply mask, and issue loads (if necessary) */
/* (d1,vc1,d0,vc0)=(1,3,0,0) */
_v_add_co_u32 v1, vcc, v1, 1                       // coord1.1: coord1Vgpr += d1*sg1*VW + vc1
GLOBAL_OFFSET_D 12, 0, 1, sgprWorkGroup2, 8
v_mov_b32 v8, v12                                  // temp store offset 0
v_mov_b32 v9, v13                                  // temp store offset 1
v_cmp_lt_u32 s[36:37], v0, s[sgprSizesFree+0]      // coord0 < size0
v_cmp_lt_u32 s[38:39], v1, s[sgprSizesFree+1]      // coord1 < size1
s_and_b64 s[40:41], s[36:37], s[38:39]             // in0 && in1
_v_add_co_u32 v12, vcc, v2, v8                     // addrVgpr = D + index*bytes (lo)
_v_addc_co_u32 v13, vcc, v3, v9, vcc               // addrVgpr = D + index*bytes (hi)
/* (d1,vc1,d0,vc0)=(1,3,1,0) */
_v_add_co_u32 v6, vcc, v0, 64                      // coord0.1: coord0 += d0*sg0*VW + vc0
GLOBAL_OFFSET_D 14, 6, 1, sgprWorkGroup2, 8
v_mov_b32 v8, v14                                  // temp store offset 0
v_mov_b32 v9, v15                                  // temp store offset 1
v_cmp_lt_u32 s[36:37], v6, s[sgprSizesFree+0]      // coord0 < size0
v_cmp_lt_u32 s[38:39], v1, s[sgprSizesFree+1]      // coord1 < size1
s_and_b64 s[42:43], s[36:37], s[38:39]             // in0 && in1
_v_add_co_u32 v14, vcc, v2, v8                     // addrVgpr = D + index*bytes (lo)
_v_addc_co_u32 v15, vcc, v3, v9, vcc               // addrVgpr = D + index*bytes (hi)
v_accvgpr_read_b32 v[vgprValuC+11], acc7 // copy acc to vreg[14]
v_accvgpr_read_b32 v[vgprValuC+16], acc23 // copy acc to vreg[15]
s_nop 1                                            // 2 wait states required before reading vgpr

/* rC *= alpha batchElements=[(1, 0, 3, 0), (1, 1, 3, 0)] */
v_mul_f32 v[vgprValuC+11], s[sgprAlpha], v[vgprValuC+11] // *= alpha
v_mul_f32 v[vgprValuC+16], s[sgprAlpha], v[vgprValuC+16] // *= alpha

/* apply mask, calc new C and issue writes */
s_mov_b64 exec, s[40:41]                           // sgprs -> exec
_global_store_b32 v[12:13], v11, off               // store D
s_mov_b64 exec, s[42:43]                           // sgprs -> exec
_global_store_b32 v[14:15], v16, off               // store D
s_mov_b64 exec, -1                                 // full mask -> exec
s_nop 0                                            // 1 wait state required when next inst writes vgprs held by previous dwordx4 store inst
/* optSingleColVgpr=0 optSharedColVgpr=0 optSGPRUsage=None optSrdIncForRow=0 */

/******************************************/
/* Global Write Alpha Edge Batch #8 (d1,d0,vc1,vc0) = */
/*    (2,0,0,0:vw1); (2,1,0,0:vw1)        */
/******************************************/

/* calc coords, apply mask, and issue loads (if necessary) */
/* (d1,vc1,d0,vc0)=(2,0,0,0) */
_v_add_co_u32 v1, vcc, v1, 5                       // coord1.1: coord1Vgpr += d1*sg1*VW + vc1
GLOBAL_OFFSET_D 12, 0, 1, sgprWorkGroup2, 8
v_mov_b32 v8, v12                                  // temp store offset 0
v_mov_b32 v9, v13                                  // temp store offset 1
v_cmp_lt_u32 s[36:37], v0, s[sgprSizesFree+0]      // coord0 < size0
v_cmp_lt_u32 s[38:39], v1, s[sgprSizesFree+1]      // coord1 < size1
s_and_b64 s[40:41], s[36:37], s[38:39]             // in0 && in1
_v_add_co_u32 v12, vcc, v2, v8                     // addrVgpr = D + index*bytes (lo)
_v_addc_co_u32 v13, vcc, v3, v9, vcc               // addrVgpr = D + index*bytes (hi)
/* (d1,vc1,d0,vc0)=(2,0,1,0) */
_v_add_co_u32 v6, vcc, v0, 64                      // coord0.1: coord0 += d0*sg0*VW + vc0
GLOBAL_OFFSET_D 14, 6, 1, sgprWorkGroup2, 8
v_mov_b32 v8, v14                                  // temp store offset 0
v_mov_b32 v9, v15                                  // temp store offset 1
v_cmp_lt_u32 s[36:37], v6, s[sgprSizesFree+0]      // coord0 < size0
v_cmp_lt_u32 s[38:39], v1, s[sgprSizesFree+1]      // coord1 < size1
s_and_b64 s[42:43], s[36:37], s[38:39]             // in0 && in1
_v_add_co_u32 v14, vcc, v2, v8                     // addrVgpr = D + index*bytes (lo)
_v_addc_co_u32 v15, vcc, v3, v9, vcc               // addrVgpr = D + index*bytes (hi)
v_accvgpr_read_b32 v[vgprValuC+11], acc8 // copy acc to vreg[16]
v_accvgpr_read_b32 v[vgprValuC+16], acc24 // copy acc to vreg[17]
s_nop 1                                            // 2 wait states required before reading vgpr

/* rC *= alpha batchElements=[(2, 0, 0, 0), (2, 1, 0, 0)] */
v_mul_f32 v[vgprValuC+11], s[sgprAlpha], v[vgprValuC+11] // *= alpha
v_mul_f32 v[vgprValuC+16], s[sgprAlpha], v[vgprValuC+16] // *= alpha

/* apply mask, calc new C and issue writes */
s_mov_b64 exec, s[40:41]                           // sgprs -> exec
_global_store_b32 v[12:13], v11, off               // store D
s_mov_b64 exec, s[42:43]                           // sgprs -> exec
_global_store_b32 v[14:15], v16, off               // store D
s_mov_b64 exec, -1                                 // full mask -> exec
s_nop 0                                            // 1 wait state required when next inst writes vgprs held by previous dwordx4 store inst
/* optSingleColVgpr=0 optSharedColVgpr=0 optSGPRUsage=None optSrdIncForRow=0 */

/******************************************/
/* Global Write Alpha Edge Batch #9 (d1,d0,vc1,vc0) = */
/*    (2,0,1,0:vw1); (2,1,1,0:vw1)        */
/******************************************/

/* calc coords, apply mask, and issue loads (if necessary) */
/* (d1,vc1,d0,vc0)=(2,1,0,0) */
_v_add_co_u32 v1, vcc, v1, 1                       // coord1.1: coord1Vgpr += d1*sg1*VW + vc1
GLOBAL_OFFSET_D 12, 0, 1, sgprWorkGroup2, 8
v_mov_b32 v8, v12                                  // temp store offset 0
v_mov_b32 v9, v13                                  // temp store offset 1
v_cmp_lt_u32 s[36:37], v0, s[sgprSizesFree+0]      // coord0 < size0
v_cmp_lt_u32 s[38:39], v1, s[sgprSizesFree+1]      // coord1 < size1
s_and_b64 s[40:41], s[36:37], s[38:39]             // in0 && in1
_v_add_co_u32 v12, vcc, v2, v8                     // addrVgpr = D + index*bytes (lo)
_v_addc_co_u32 v13, vcc, v3, v9, vcc               // addrVgpr = D + index*bytes (hi)
/* (d1,vc1,d0,vc0)=(2,1,1,0) */
_v_add_co_u32 v6, vcc, v0, 64                      // coord0.1: coord0 += d0*sg0*VW + vc0
GLOBAL_OFFSET_D 14, 6, 1, sgprWorkGroup2, 8
v_mov_b32 v8, v14                                  // temp store offset 0
v_mov_b32 v9, v15                                  // temp store offset 1
v_cmp_lt_u32 s[36:37], v6, s[sgprSizesFree+0]      // coord0 < size0
v_cmp_lt_u32 s[38:39], v1, s[sgprSizesFree+1]      // coord1 < size1
s_and_b64 s[42:43], s[36:37], s[38:39]             // in0 && in1
_v_add_co_u32 v14, vcc, v2, v8                     // addrVgpr = D + index*bytes (lo)
_v_addc_co_u32 v15, vcc, v3, v9, vcc               // addrVgpr = D + index*bytes (hi)
v_accvgpr_read_b32 v[vgprValuC+11], acc9 // copy acc to vreg[18]
v_accvgpr_read_b32 v[vgprValuC+16], acc25 // copy acc to vreg[19]
s_nop 1                                            // 2 wait states required before reading vgpr

/* rC *= alpha batchElements=[(2, 0, 1, 0), (2, 1, 1, 0)] */
v_mul_f32 v[vgprValuC+11], s[sgprAlpha], v[vgprValuC+11] // *= alpha
v_mul_f32 v[vgprValuC+16], s[sgprAlpha], v[vgprValuC+16] // *= alpha

/* apply mask, calc new C and issue writes */
s_mov_b64 exec, s[40:41]                           // sgprs -> exec
_global_store_b32 v[12:13], v11, off               // store D
s_mov_b64 exec, s[42:43]                           // sgprs -> exec
_global_store_b32 v[14:15], v16, off               // store D
s_mov_b64 exec, -1                                 // full mask -> exec
s_nop 0                                            // 1 wait state required when next inst writes vgprs held by previous dwordx4 store inst
/* optSingleColVgpr=0 optSharedColVgpr=0 optSGPRUsage=None optSrdIncForRow=0 */

/******************************************/
/* Global Write Alpha Edge Batch #10 (d1,d0,vc1,vc0) = */
/*    (2,0,2,0:vw1); (2,1,2,0:vw1)        */
/******************************************/

/* calc coords, apply mask, and issue loads (if necessary) */
/* (d1,vc1,d0,vc0)=(2,2,0,0) */
_v_add_co_u32 v1, vcc, v1, 1                       // coord1.1: coord1Vgpr += d1*sg1*VW + vc1
GLOBAL_OFFSET_D 12, 0, 1, sgprWorkGroup2, 8
v_mov_b32 v8, v12                                  // temp store offset 0
v_mov_b32 v9, v13                                  // temp store offset 1
v_cmp_lt_u32 s[36:37], v0, s[sgprSizesFree+0]      // coord0 < size0
v_cmp_lt_u32 s[38:39], v1, s[sgprSizesFree+1]      // coord1 < size1
s_and_b64 s[40:41], s[36:37], s[38:39]             // in0 && in1
_v_add_co_u32 v12, vcc, v2, v8                     // addrVgpr = D + index*bytes (lo)
_v_addc_co_u32 v13, vcc, v3, v9, vcc               // addrVgpr = D + index*bytes (hi)
/* (d1,vc1,d0,vc0)=(2,2,1,0) */
_v_add_co_u32 v6, vcc, v0, 64                      // coord0.1: coord0 += d0*sg0*VW + vc0
GLOBAL_OFFSET_D 14, 6, 1, sgprWorkGroup2, 8
v_mov_b32 v8, v14                                  // temp store offset 0
v_mov_b32 v9, v15                                  // temp store offset 1
v_cmp_lt_u32 s[36:37], v6, s[sgprSizesFree+0]      // coord0 < size0
v_cmp_lt_u32 s[38:39], v1, s[sgprSizesFree+1]      // coord1 < size1
s_and_b64 s[42:43], s[36:37], s[38:39]             // in0 && in1
_v_add_co_u32 v14, vcc, v2, v8                     // addrVgpr = D + index*bytes (lo)
_v_addc_co_u32 v15, vcc, v3, v9, vcc               // addrVgpr = D + index*bytes (hi)
v_accvgpr_read_b32 v[vgprValuC+11], acc10 // copy acc to vreg[20]
v_accvgpr_read_b32 v[vgprValuC+16], acc26 // copy acc to vreg[21]
s_nop 1                                            // 2 wait states required before reading vgpr

/* rC *= alpha batchElements=[(2, 0, 2, 0), (2, 1, 2, 0)] */
v_mul_f32 v[vgprValuC+11], s[sgprAlpha], v[vgprValuC+11] // *= alpha
v_mul_f32 v[vgprValuC+16], s[sgprAlpha], v[vgprValuC+16] // *= alpha

/* apply mask, calc new C and issue writes */
s_mov_b64 exec, s[40:41]                           // sgprs -> exec
_global_store_b32 v[12:13], v11, off               // store D
s_mov_b64 exec, s[42:43]                           // sgprs -> exec
_global_store_b32 v[14:15], v16, off               // store D
s_mov_b64 exec, -1                                 // full mask -> exec
s_nop 0                                            // 1 wait state required when next inst writes vgprs held by previous dwordx4 store inst
/* optSingleColVgpr=0 optSharedColVgpr=0 optSGPRUsage=None optSrdIncForRow=0 */

/******************************************/
/* Global Write Alpha Edge Batch #11 (d1,d0,vc1,vc0) = */
/*    (2,0,3,0:vw1); (2,1,3,0:vw1)        */
/******************************************/

/* calc coords, apply mask, and issue loads (if necessary) */
/* (d1,vc1,d0,vc0)=(2,3,0,0) */
_v_add_co_u32 v1, vcc, v1, 1                       // coord1.1: coord1Vgpr += d1*sg1*VW + vc1
GLOBAL_OFFSET_D 12, 0, 1, sgprWorkGroup2, 8
v_mov_b32 v8, v12                                  // temp store offset 0
v_mov_b32 v9, v13                                  // temp store offset 1
v_cmp_lt_u32 s[36:37], v0, s[sgprSizesFree+0]      // coord0 < size0
v_cmp_lt_u32 s[38:39], v1, s[sgprSizesFree+1]      // coord1 < size1
s_and_b64 s[40:41], s[36:37], s[38:39]             // in0 && in1
_v_add_co_u32 v12, vcc, v2, v8                     // addrVgpr = D + index*bytes (lo)
_v_addc_co_u32 v13, vcc, v3, v9, vcc               // addrVgpr = D + index*bytes (hi)
/* (d1,vc1,d0,vc0)=(2,3,1,0) */
_v_add_co_u32 v6, vcc, v0, 64                      // coord0.1: coord0 += d0*sg0*VW + vc0
GLOBAL_OFFSET_D 14, 6, 1, sgprWorkGroup2, 8
v_mov_b32 v8, v14                                  // temp store offset 0
v_mov_b32 v9, v15                                  // temp store offset 1
v_cmp_lt_u32 s[36:37], v6, s[sgprSizesFree+0]      // coord0 < size0
v_cmp_lt_u32 s[38:39], v1, s[sgprSizesFree+1]      // coord1 < size1
s_and_b64 s[42:43], s[36:37], s[38:39]             // in0 && in1
_v_add_co_u32 v14, vcc, v2, v8                     // addrVgpr = D + index*bytes (lo)
_v_addc_co_u32 v15, vcc, v3, v9, vcc               // addrVgpr = D + index*bytes (hi)
v_accvgpr_read_b32 v[vgprValuC+11], acc11 // copy acc to vreg[22]
v_accvgpr_read_b32 v[vgprValuC+16], acc27 // copy acc to vreg[23]
s_nop 1                                            // 2 wait states required before reading vgpr

/* rC *= alpha batchElements=[(2, 0, 3, 0), (2, 1, 3, 0)] */
v_mul_f32 v[vgprValuC+11], s[sgprAlpha], v[vgprValuC+11] // *= alpha
v_mul_f32 v[vgprValuC+16], s[sgprAlpha], v[vgprValuC+16] // *= alpha

/* apply mask, calc new C and issue writes */
s_mov_b64 exec, s[40:41]                           // sgprs -> exec
_global_store_b32 v[12:13], v11, off               // store D
s_mov_b64 exec, s[42:43]                           // sgprs -> exec
_global_store_b32 v[14:15], v16, off               // store D
s_mov_b64 exec, -1                                 // full mask -> exec
s_nop 0                                            // 1 wait state required when next inst writes vgprs held by previous dwordx4 store inst
/* optSingleColVgpr=0 optSharedColVgpr=0 optSGPRUsage=None optSrdIncForRow=0 */

/******************************************/
/* Global Write Alpha Edge Batch #12 (d1,d0,vc1,vc0) = */
/*    (3,0,0,0:vw1); (3,1,0,0:vw1)        */
/******************************************/

/* calc coords, apply mask, and issue loads (if necessary) */
/* (d1,vc1,d0,vc0)=(3,0,0,0) */
_v_add_co_u32 v1, vcc, v1, 5                       // coord1.1: coord1Vgpr += d1*sg1*VW + vc1
GLOBAL_OFFSET_D 12, 0, 1, sgprWorkGroup2, 8
v_mov_b32 v8, v12                                  // temp store offset 0
v_mov_b32 v9, v13                                  // temp store offset 1
v_cmp_lt_u32 s[36:37], v0, s[sgprSizesFree+0]      // coord0 < size0
v_cmp_lt_u32 s[38:39], v1, s[sgprSizesFree+1]      // coord1 < size1
s_and_b64 s[40:41], s[36:37], s[38:39]             // in0 && in1
_v_add_co_u32 v12, vcc, v2, v8                     // addrVgpr = D + index*bytes (lo)
_v_addc_co_u32 v13, vcc, v3, v9, vcc               // addrVgpr = D + index*bytes (hi)
/* (d1,vc1,d0,vc0)=(3,0,1,0) */
_v_add_co_u32 v6, vcc, v0, 64                      // coord0.1: coord0 += d0*sg0*VW + vc0
GLOBAL_OFFSET_D 14, 6, 1, sgprWorkGroup2, 8
v_mov_b32 v8, v14                                  // temp store offset 0
v_mov_b32 v9, v15                                  // temp store offset 1
v_cmp_lt_u32 s[36:37], v6, s[sgprSizesFree+0]      // coord0 < size0
v_cmp_lt_u32 s[38:39], v1, s[sgprSizesFree+1]      // coord1 < size1
s_and_b64 s[42:43], s[36:37], s[38:39]             // in0 && in1
_v_add_co_u32 v14, vcc, v2, v8                     // addrVgpr = D + index*bytes (lo)
_v_addc_co_u32 v15, vcc, v3, v9, vcc               // addrVgpr = D + index*bytes (hi)
v_accvgpr_read_b32 v[vgprValuC+11], acc12 // copy acc to vreg[24]
v_accvgpr_read_b32 v[vgprValuC+16], acc28 // copy acc to vreg[25]
s_nop 1                                            // 2 wait states required before reading vgpr

/* rC *= alpha batchElements=[(3, 0, 0, 0), (3, 1, 0, 0)] */
v_mul_f32 v[vgprValuC+11], s[sgprAlpha], v[vgprValuC+11] // *= alpha
v_mul_f32 v[vgprValuC+16], s[sgprAlpha], v[vgprValuC+16] // *= alpha

/* apply mask, calc new C and issue writes */
s_mov_b64 exec, s[40:41]                           // sgprs -> exec
_global_store_b32 v[12:13], v11, off               // store D
s_mov_b64 exec, s[42:43]                           // sgprs -> exec
_global_store_b32 v[14:15], v16, off               // store D
s_mov_b64 exec, -1                                 // full mask -> exec
s_nop 0                                            // 1 wait state required when next inst writes vgprs held by previous dwordx4 store inst
/* optSingleColVgpr=0 optSharedColVgpr=0 optSGPRUsage=None optSrdIncForRow=0 */

/******************************************/
/* Global Write Alpha Edge Batch #13 (d1,d0,vc1,vc0) = */
/*    (3,0,1,0:vw1); (3,1,1,0:vw1)        */
/******************************************/

/* calc coords, apply mask, and issue loads (if necessary) */
/* (d1,vc1,d0,vc0)=(3,1,0,0) */
_v_add_co_u32 v1, vcc, v1, 1                       // coord1.1: coord1Vgpr += d1*sg1*VW + vc1
GLOBAL_OFFSET_D 12, 0, 1, sgprWorkGroup2, 8
v_mov_b32 v8, v12                                  // temp store offset 0
v_mov_b32 v9, v13                                  // temp store offset 1
v_cmp_lt_u32 s[36:37], v0, s[sgprSizesFree+0]      // coord0 < size0
v_cmp_lt_u32 s[38:39], v1, s[sgprSizesFree+1]      // coord1 < size1
s_and_b64 s[40:41], s[36:37], s[38:39]             // in0 && in1
_v_add_co_u32 v12, vcc, v2, v8                     // addrVgpr = D + index*bytes (lo)
_v_addc_co_u32 v13, vcc, v3, v9, vcc               // addrVgpr = D + index*bytes (hi)
/* (d1,vc1,d0,vc0)=(3,1,1,0) */
_v_add_co_u32 v6, vcc, v0, 64                      // coord0.1: coord0 += d0*sg0*VW + vc0
GLOBAL_OFFSET_D 14, 6, 1, sgprWorkGroup2, 8
v_mov_b32 v8, v14                                  // temp store offset 0
v_mov_b32 v9, v15                                  // temp store offset 1
v_cmp_lt_u32 s[36:37], v6, s[sgprSizesFree+0]      // coord0 < size0
v_cmp_lt_u32 s[38:39], v1, s[sgprSizesFree+1]      // coord1 < size1
s_and_b64 s[42:43], s[36:37], s[38:39]             // in0 && in1
_v_add_co_u32 v14, vcc, v2, v8                     // addrVgpr = D + index*bytes (lo)
_v_addc_co_u32 v15, vcc, v3, v9, vcc               // addrVgpr = D + index*bytes (hi)
v_accvgpr_read_b32 v[vgprValuC+11], acc13 // copy acc to vreg[26]
v_accvgpr_read_b32 v[vgprValuC+16], acc29 // copy acc to vreg[27]
s_nop 1                                            // 2 wait states required before reading vgpr

/* rC *= alpha batchElements=[(3, 0, 1, 0), (3, 1, 1, 0)] */
v_mul_f32 v[vgprValuC+11], s[sgprAlpha], v[vgprValuC+11] // *= alpha
v_mul_f32 v[vgprValuC+16], s[sgprAlpha], v[vgprValuC+16] // *= alpha

/* apply mask, calc new C and issue writes */
s_mov_b64 exec, s[40:41]                           // sgprs -> exec
_global_store_b32 v[12:13], v11, off               // store D
s_mov_b64 exec, s[42:43]                           // sgprs -> exec
_global_store_b32 v[14:15], v16, off               // store D
s_mov_b64 exec, -1                                 // full mask -> exec
s_nop 0                                            // 1 wait state required when next inst writes vgprs held by previous dwordx4 store inst
/* optSingleColVgpr=0 optSharedColVgpr=0 optSGPRUsage=None optSrdIncForRow=0 */

/******************************************/
/* Global Write Alpha Edge Batch #14 (d1,d0,vc1,vc0) = */
/*    (3,0,2,0:vw1); (3,1,2,0:vw1)        */
/******************************************/

/* calc coords, apply mask, and issue loads (if necessary) */
/* (d1,vc1,d0,vc0)=(3,2,0,0) */
_v_add_co_u32 v1, vcc, v1, 1                       // coord1.1: coord1Vgpr += d1*sg1*VW + vc1
GLOBAL_OFFSET_D 12, 0, 1, sgprWorkGroup2, 8
v_mov_b32 v8, v12                                  // temp store offset 0
v_mov_b32 v9, v13                                  // temp store offset 1
v_cmp_lt_u32 s[36:37], v0, s[sgprSizesFree+0]      // coord0 < size0
v_cmp_lt_u32 s[38:39], v1, s[sgprSizesFree+1]      // coord1 < size1
s_and_b64 s[40:41], s[36:37], s[38:39]             // in0 && in1
_v_add_co_u32 v12, vcc, v2, v8                     // addrVgpr = D + index*bytes (lo)
_v_addc_co_u32 v13, vcc, v3, v9, vcc               // addrVgpr = D + index*bytes (hi)
/* (d1,vc1,d0,vc0)=(3,2,1,0) */
_v_add_co_u32 v6, vcc, v0, 64                      // coord0.1: coord0 += d0*sg0*VW + vc0
GLOBAL_OFFSET_D 14, 6, 1, sgprWorkGroup2, 8
v_mov_b32 v8, v14                                  // temp store offset 0
v_mov_b32 v9, v15                                  // temp store offset 1
v_cmp_lt_u32 s[36:37], v6, s[sgprSizesFree+0]      // coord0 < size0
v_cmp_lt_u32 s[38:39], v1, s[sgprSizesFree+1]      // coord1 < size1
s_and_b64 s[42:43], s[36:37], s[38:39]             // in0 && in1
_v_add_co_u32 v14, vcc, v2, v8                     // addrVgpr = D + index*bytes (lo)
_v_addc_co_u32 v15, vcc, v3, v9, vcc               // addrVgpr = D + index*bytes (hi)
v_accvgpr_read_b32 v[vgprValuC+11], acc14 // copy acc to vreg[28]
v_accvgpr_read_b32 v[vgprValuC+16], acc30 // copy acc to vreg[29]
s_nop 1                                            // 2 wait states required before reading vgpr

/* rC *= alpha batchElements=[(3, 0, 2, 0), (3, 1, 2, 0)] */
v_mul_f32 v[vgprValuC+11], s[sgprAlpha], v[vgprValuC+11] // *= alpha
v_mul_f32 v[vgprValuC+16], s[sgprAlpha], v[vgprValuC+16] // *= alpha

/* apply mask, calc new C and issue writes */
s_mov_b64 exec, s[40:41]                           // sgprs -> exec
_global_store_b32 v[12:13], v11, off               // store D
s_mov_b64 exec, s[42:43]                           // sgprs -> exec
_global_store_b32 v[14:15], v16, off               // store D
s_mov_b64 exec, -1                                 // full mask -> exec
s_nop 0                                            // 1 wait state required when next inst writes vgprs held by previous dwordx4 store inst
/* optSingleColVgpr=0 optSharedColVgpr=0 optSGPRUsage=None optSrdIncForRow=0 */

/******************************************/
/* Global Write Alpha Edge Batch #15 (d1,d0,vc1,vc0) = */
/*    (3,0,3,0:vw1); (3,1,3,0:vw1)        */
/******************************************/

/* calc coords, apply mask, and issue loads (if necessary) */
/* (d1,vc1,d0,vc0)=(3,3,0,0) */
_v_add_co_u32 v1, vcc, v1, 1                       // coord1.1: coord1Vgpr += d1*sg1*VW + vc1
GLOBAL_OFFSET_D 12, 0, 1, sgprWorkGroup2, 8
v_mov_b32 v8, v12                                  // temp store offset 0
v_mov_b32 v9, v13                                  // temp store offset 1
v_cmp_lt_u32 s[36:37], v0, s[sgprSizesFree+0]      // coord0 < size0
v_cmp_lt_u32 s[38:39], v1, s[sgprSizesFree+1]      // coord1 < size1
s_and_b64 s[40:41], s[36:37], s[38:39]             // in0 && in1
_v_add_co_u32 v12, vcc, v2, v8                     // addrVgpr = D + index*bytes (lo)
_v_addc_co_u32 v13, vcc, v3, v9, vcc               // addrVgpr = D + index*bytes (hi)
/* (d1,vc1,d0,vc0)=(3,3,1,0) */
_v_add_co_u32 v6, vcc, v0, 64                      // coord0.1: coord0 += d0*sg0*VW + vc0
GLOBAL_OFFSET_D 14, 6, 1, sgprWorkGroup2, 8
v_mov_b32 v8, v14                                  // temp store offset 0
v_mov_b32 v9, v15                                  // temp store offset 1
v_cmp_lt_u32 s[36:37], v6, s[sgprSizesFree+0]      // coord0 < size0
v_cmp_lt_u32 s[38:39], v1, s[sgprSizesFree+1]      // coord1 < size1
s_and_b64 s[42:43], s[36:37], s[38:39]             // in0 && in1
_v_add_co_u32 v14, vcc, v2, v8                     // addrVgpr = D + index*bytes (lo)
_v_addc_co_u32 v15, vcc, v3, v9, vcc               // addrVgpr = D + index*bytes (hi)
v_accvgpr_read_b32 v[vgprValuC+11], acc15 // copy acc to vreg[30]
v_accvgpr_read_b32 v[vgprValuC+16], acc31 // copy acc to vreg[31]
s_nop 1                                            // 2 wait states required before reading vgpr

/* rC *= alpha batchElements=[(3, 0, 3, 0), (3, 1, 3, 0)] */
v_mul_f32 v[vgprValuC+11], s[sgprAlpha], v[vgprValuC+11] // *= alpha
v_mul_f32 v[vgprValuC+16], s[sgprAlpha], v[vgprValuC+16] // *= alpha

/* apply mask, calc new C and issue writes */
s_mov_b64 exec, s[40:41]                           // sgprs -> exec
_global_store_b32 v[12:13], v11, off               // store D
s_mov_b64 exec, s[42:43]                           // sgprs -> exec
_global_store_b32 v[14:15], v16, off               // store D
s_mov_b64 exec, -1                                 // full mask -> exec
s_nop 0                                            // 1 wait state required when next inst writes vgprs held by previous dwordx4 store inst
/* optSingleColVgpr=0 optSharedColVgpr=0 optSGPRUsage=None optSrdIncForRow=0 */

/******************************************/
/* Global Write Alpha Edge Batch #16 (d1,d0,vc1,vc0) = */
/*    (4,0,0,0:vw1); (4,1,0,0:vw1)        */
/******************************************/

/* calc coords, apply mask, and issue loads (if necessary) */
/* (d1,vc1,d0,vc0)=(4,0,0,0) */
_v_add_co_u32 v1, vcc, v1, 37                      // coord1.1: coord1Vgpr += d1*sg1*VW + vc1
GLOBAL_OFFSET_D 12, 0, 1, sgprWorkGroup2, 8
v_mov_b32 v8, v12                                  // temp store offset 0
v_mov_b32 v9, v13                                  // temp store offset 1
v_cmp_lt_u32 s[36:37], v0, s[sgprSizesFree+0]      // coord0 < size0
v_cmp_lt_u32 s[38:39], v1, s[sgprSizesFree+1]      // coord1 < size1
s_and_b64 s[40:41], s[36:37], s[38:39]             // in0 && in1
_v_add_co_u32 v12, vcc, v2, v8                     // addrVgpr = D + index*bytes (lo)
_v_addc_co_u32 v13, vcc, v3, v9, vcc               // addrVgpr = D + index*bytes (hi)
/* (d1,vc1,d0,vc0)=(4,0,1,0) */
_v_add_co_u32 v6, vcc, v0, 64                      // coord0.1: coord0 += d0*sg0*VW + vc0
GLOBAL_OFFSET_D 14, 6, 1, sgprWorkGroup2, 8
v_mov_b32 v8, v14                                  // temp store offset 0
v_mov_b32 v9, v15                                  // temp store offset 1
v_cmp_lt_u32 s[36:37], v6, s[sgprSizesFree+0]      // coord0 < size0
v_cmp_lt_u32 s[38:39], v1, s[sgprSizesFree+1]      // coord1 < size1
s_and_b64 s[42:43], s[36:37], s[38:39]             // in0 && in1
_v_add_co_u32 v14, vcc, v2, v8                     // addrVgpr = D + index*bytes (lo)
_v_addc_co_u32 v15, vcc, v3, v9, vcc               // addrVgpr = D + index*bytes (hi)
v_accvgpr_read_b32 v[vgprValuC+11], acc32 // copy acc to vreg[32]
v_accvgpr_read_b32 v[vgprValuC+16], acc48 // copy acc to vreg[33]
s_nop 1                                            // 2 wait states required before reading vgpr

/* rC *= alpha batchElements=[(4, 0, 0, 0), (4, 1, 0, 0)] */
v_mul_f32 v[vgprValuC+11], s[sgprAlpha], v[vgprValuC+11] // *= alpha
v_mul_f32 v[vgprValuC+16], s[sgprAlpha], v[vgprValuC+16] // *= alpha

/* apply mask, calc new C and issue writes */
s_mov_b64 exec, s[40:41]                           // sgprs -> exec
_global_store_b32 v[12:13], v11, off               // store D
s_mov_b64 exec, s[42:43]                           // sgprs -> exec
_global_store_b32 v[14:15], v16, off               // store D
s_mov_b64 exec, -1                                 // full mask -> exec
s_nop 0                                            // 1 wait state required when next inst writes vgprs held by previous dwordx4 store inst
/* optSingleColVgpr=0 optSharedColVgpr=0 optSGPRUsage=None optSrdIncForRow=0 */

/******************************************/
/* Global Write Alpha Edge Batch #17 (d1,d0,vc1,vc0) = */
/*    (4,0,1,0:vw1); (4,1,1,0:vw1)        */
/******************************************/

/* calc coords, apply mask, and issue loads (if necessary) */
/* (d1,vc1,d0,vc0)=(4,1,0,0) */
_v_add_co_u32 v1, vcc, v1, 1                       // coord1.1: coord1Vgpr += d1*sg1*VW + vc1
GLOBAL_OFFSET_D 12, 0, 1, sgprWorkGroup2, 8
v_mov_b32 v8, v12                                  // temp store offset 0
v_mov_b32 v9, v13                                  // temp store offset 1
v_cmp_lt_u32 s[36:37], v0, s[sgprSizesFree+0]      // coord0 < size0
v_cmp_lt_u32 s[38:39], v1, s[sgprSizesFree+1]      // coord1 < size1
s_and_b64 s[40:41], s[36:37], s[38:39]             // in0 && in1
_v_add_co_u32 v12, vcc, v2, v8                     // addrVgpr = D + index*bytes (lo)
_v_addc_co_u32 v13, vcc, v3, v9, vcc               // addrVgpr = D + index*bytes (hi)
/* (d1,vc1,d0,vc0)=(4,1,1,0) */
_v_add_co_u32 v6, vcc, v0, 64                      // coord0.1: coord0 += d0*sg0*VW + vc0
GLOBAL_OFFSET_D 14, 6, 1, sgprWorkGroup2, 8
v_mov_b32 v8, v14                                  // temp store offset 0
v_mov_b32 v9, v15                                  // temp store offset 1
v_cmp_lt_u32 s[36:37], v6, s[sgprSizesFree+0]      // coord0 < size0
v_cmp_lt_u32 s[38:39], v1, s[sgprSizesFree+1]      // coord1 < size1
s_and_b64 s[42:43], s[36:37], s[38:39]             // in0 && in1
_v_add_co_u32 v14, vcc, v2, v8                     // addrVgpr = D + index*bytes (lo)
_v_addc_co_u32 v15, vcc, v3, v9, vcc               // addrVgpr = D + index*bytes (hi)
v_accvgpr_read_b32 v[vgprValuC+11], acc33 // copy acc to vreg[34]
v_accvgpr_read_b32 v[vgprValuC+16], acc49 // copy acc to vreg[35]
s_nop 1                                            // 2 wait states required before reading vgpr

/* rC *= alpha batchElements=[(4, 0, 1, 0), (4, 1, 1, 0)] */
v_mul_f32 v[vgprValuC+11], s[sgprAlpha], v[vgprValuC+11] // *= alpha
v_mul_f32 v[vgprValuC+16], s[sgprAlpha], v[vgprValuC+16] // *= alpha

/* apply mask, calc new C and issue writes */
s_mov_b64 exec, s[40:41]                           // sgprs -> exec
_global_store_b32 v[12:13], v11, off               // store D
s_mov_b64 exec, s[42:43]                           // sgprs -> exec
_global_store_b32 v[14:15], v16, off               // store D
s_mov_b64 exec, -1                                 // full mask -> exec
s_nop 0                                            // 1 wait state required when next inst writes vgprs held by previous dwordx4 store inst
/* optSingleColVgpr=0 optSharedColVgpr=0 optSGPRUsage=None optSrdIncForRow=0 */

/******************************************/
/* Global Write Alpha Edge Batch #18 (d1,d0,vc1,vc0) = */
/*    (4,0,2,0:vw1); (4,1,2,0:vw1)        */
/******************************************/

/* calc coords, apply mask, and issue loads (if necessary) */
/* (d1,vc1,d0,vc0)=(4,2,0,0) */
_v_add_co_u32 v1, vcc, v1, 1                       // coord1.1: coord1Vgpr += d1*sg1*VW + vc1
GLOBAL_OFFSET_D 12, 0, 1, sgprWorkGroup2, 8
v_mov_b32 v8, v12                                  // temp store offset 0
v_mov_b32 v9, v13                                  // temp store offset 1
v_cmp_lt_u32 s[36:37], v0, s[sgprSizesFree+0]      // coord0 < size0
v_cmp_lt_u32 s[38:39], v1, s[sgprSizesFree+1]      // coord1 < size1
s_and_b64 s[40:41], s[36:37], s[38:39]             // in0 && in1
_v_add_co_u32 v12, vcc, v2, v8                     // addrVgpr = D + index*bytes (lo)
_v_addc_co_u32 v13, vcc, v3, v9, vcc               // addrVgpr = D + index*bytes (hi)
/* (d1,vc1,d0,vc0)=(4,2,1,0) */
_v_add_co_u32 v6, vcc, v0, 64                      // coord0.1: coord0 += d0*sg0*VW + vc0
GLOBAL_OFFSET_D 14, 6, 1, sgprWorkGroup2, 8
v_mov_b32 v8, v14                                  // temp store offset 0
v_mov_b32 v9, v15                                  // temp store offset 1
v_cmp_lt_u32 s[36:37], v6, s[sgprSizesFree+0]      // coord0 < size0
v_cmp_lt_u32 s[38:39], v1, s[sgprSizesFree+1]      // coord1 < size1
s_and_b64 s[42:43], s[36:37], s[38:39]             // in0 && in1
_v_add_co_u32 v14, vcc, v2, v8                     // addrVgpr = D + index*bytes (lo)
_v_addc_co_u32 v15, vcc, v3, v9, vcc               // addrVgpr = D + index*bytes (hi)
v_accvgpr_read_b32 v[vgprValuC+11], acc34 // copy acc to vreg[36]
v_accvgpr_read_b32 v[vgprValuC+16], acc50 // copy acc to vreg[37]
s_nop 1                                            // 2 wait states required before reading vgpr

/* rC *= alpha batchElements=[(4, 0, 2, 0), (4, 1, 2, 0)] */
v_mul_f32 v[vgprValuC+11], s[sgprAlpha], v[vgprValuC+11] // *= alpha
v_mul_f32 v[vgprValuC+16], s[sgprAlpha], v[vgprValuC+16] // *= alpha

/* apply mask, calc new C and issue writes */
s_mov_b64 exec, s[40:41]                           // sgprs -> exec
_global_store_b32 v[12:13], v11, off               // store D
s_mov_b64 exec, s[42:43]                           // sgprs -> exec
_global_store_b32 v[14:15], v16, off               // store D
s_mov_b64 exec, -1                                 // full mask -> exec
s_nop 0                                            // 1 wait state required when next inst writes vgprs held by previous dwordx4 store inst
/* optSingleColVgpr=0 optSharedColVgpr=0 optSGPRUsage=None optSrdIncForRow=0 */

/******************************************/
/* Global Write Alpha Edge Batch #19 (d1,d0,vc1,vc0) = */
/*    (4,0,3,0:vw1); (4,1,3,0:vw1)        */
/******************************************/

/* calc coords, apply mask, and issue loads (if necessary) */
/* (d1,vc1,d0,vc0)=(4,3,0,0) */
_v_add_co_u32 v1, vcc, v1, 1                       // coord1.1: coord1Vgpr += d1*sg1*VW + vc1
GLOBAL_OFFSET_D 12, 0, 1, sgprWorkGroup2, 8
v_mov_b32 v8, v12                                  // temp store offset 0
v_mov_b32 v9, v13                                  // temp store offset 1
v_cmp_lt_u32 s[36:37], v0, s[sgprSizesFree+0]      // coord0 < size0
v_cmp_lt_u32 s[38:39], v1, s[sgprSizesFree+1]      // coord1 < size1
s_and_b64 s[40:41], s[36:37], s[38:39]             // in0 && in1
_v_add_co_u32 v12, vcc, v2, v8                     // addrVgpr = D + index*bytes (lo)
_v_addc_co_u32 v13, vcc, v3, v9, vcc               // addrVgpr = D + index*bytes (hi)
/* (d1,vc1,d0,vc0)=(4,3,1,0) */
_v_add_co_u32 v6, vcc, v0, 64                      // coord0.1: coord0 += d0*sg0*VW + vc0
GLOBAL_OFFSET_D 14, 6, 1, sgprWorkGroup2, 8
v_mov_b32 v8, v14                                  // temp store offset 0
v_mov_b32 v9, v15                                  // temp store offset 1
v_cmp_lt_u32 s[36:37], v6, s[sgprSizesFree+0]      // coord0 < size0
v_cmp_lt_u32 s[38:39], v1, s[sgprSizesFree+1]      // coord1 < size1
s_and_b64 s[42:43], s[36:37], s[38:39]             // in0 && in1
_v_add_co_u32 v14, vcc, v2, v8                     // addrVgpr = D + index*bytes (lo)
_v_addc_co_u32 v15, vcc, v3, v9, vcc               // addrVgpr = D + index*bytes (hi)
v_accvgpr_read_b32 v[vgprValuC+11], acc35 // copy acc to vreg[38]
v_accvgpr_read_b32 v[vgprValuC+16], acc51 // copy acc to vreg[39]
s_nop 1                                            // 2 wait states required before reading vgpr

/* rC *= alpha batchElements=[(4, 0, 3, 0), (4, 1, 3, 0)] */
v_mul_f32 v[vgprValuC+11], s[sgprAlpha], v[vgprValuC+11] // *= alpha
v_mul_f32 v[vgprValuC+16], s[sgprAlpha], v[vgprValuC+16] // *= alpha

/* apply mask, calc new C and issue writes */
s_mov_b64 exec, s[40:41]                           // sgprs -> exec
_global_store_b32 v[12:13], v11, off               // store D
s_mov_b64 exec, s[42:43]                           // sgprs -> exec
_global_store_b32 v[14:15], v16, off               // store D
s_mov_b64 exec, -1                                 // full mask -> exec
s_nop 0                                            // 1 wait state required when next inst writes vgprs held by previous dwordx4 store inst
/* optSingleColVgpr=0 optSharedColVgpr=0 optSGPRUsage=None optSrdIncForRow=0 */

/******************************************/
/* Global Write Alpha Edge Batch #20 (d1,d0,vc1,vc0) = */
/*    (5,0,0,0:vw1); (5,1,0,0:vw1)        */
/******************************************/

/* calc coords, apply mask, and issue loads (if necessary) */
/* (d1,vc1,d0,vc0)=(5,0,0,0) */
_v_add_co_u32 v1, vcc, v1, 5                       // coord1.1: coord1Vgpr += d1*sg1*VW + vc1
GLOBAL_OFFSET_D 12, 0, 1, sgprWorkGroup2, 8
v_mov_b32 v8, v12                                  // temp store offset 0
v_mov_b32 v9, v13                                  // temp store offset 1
v_cmp_lt_u32 s[36:37], v0, s[sgprSizesFree+0]      // coord0 < size0
v_cmp_lt_u32 s[38:39], v1, s[sgprSizesFree+1]      // coord1 < size1
s_and_b64 s[40:41], s[36:37], s[38:39]             // in0 && in1
_v_add_co_u32 v12, vcc, v2, v8                     // addrVgpr = D + index*bytes (lo)
_v_addc_co_u32 v13, vcc, v3, v9, vcc               // addrVgpr = D + index*bytes (hi)
/* (d1,vc1,d0,vc0)=(5,0,1,0) */
_v_add_co_u32 v6, vcc, v0, 64                      // coord0.1: coord0 += d0*sg0*VW + vc0
GLOBAL_OFFSET_D 14, 6, 1, sgprWorkGroup2, 8
v_mov_b32 v8, v14                                  // temp store offset 0
v_mov_b32 v9, v15                                  // temp store offset 1
v_cmp_lt_u32 s[36:37], v6, s[sgprSizesFree+0]      // coord0 < size0
v_cmp_lt_u32 s[38:39], v1, s[sgprSizesFree+1]      // coord1 < size1
s_and_b64 s[42:43], s[36:37], s[38:39]             // in0 && in1
_v_add_co_u32 v14, vcc, v2, v8                     // addrVgpr = D + index*bytes (lo)
_v_addc_co_u32 v15, vcc, v3, v9, vcc               // addrVgpr = D + index*bytes (hi)
v_accvgpr_read_b32 v[vgprValuC+11], acc36 // copy acc to vreg[40]
v_accvgpr_read_b32 v[vgprValuC+16], acc52 // copy acc to vreg[41]
s_nop 1                                            // 2 wait states required before reading vgpr

/* rC *= alpha batchElements=[(5, 0, 0, 0), (5, 1, 0, 0)] */
v_mul_f32 v[vgprValuC+11], s[sgprAlpha], v[vgprValuC+11] // *= alpha
v_mul_f32 v[vgprValuC+16], s[sgprAlpha], v[vgprValuC+16] // *= alpha

/* apply mask, calc new C and issue writes */
s_mov_b64 exec, s[40:41]                           // sgprs -> exec
_global_store_b32 v[12:13], v11, off               // store D
s_mov_b64 exec, s[42:43]                           // sgprs -> exec
_global_store_b32 v[14:15], v16, off               // store D
s_mov_b64 exec, -1                                 // full mask -> exec
s_nop 0                                            // 1 wait state required when next inst writes vgprs held by previous dwordx4 store inst
/* optSingleColVgpr=0 optSharedColVgpr=0 optSGPRUsage=None optSrdIncForRow=0 */

/******************************************/
/* Global Write Alpha Edge Batch #21 (d1,d0,vc1,vc0) = */
/*    (5,0,1,0:vw1); (5,1,1,0:vw1)        */
/******************************************/

/* calc coords, apply mask, and issue loads (if necessary) */
/* (d1,vc1,d0,vc0)=(5,1,0,0) */
_v_add_co_u32 v1, vcc, v1, 1                       // coord1.1: coord1Vgpr += d1*sg1*VW + vc1
GLOBAL_OFFSET_D 12, 0, 1, sgprWorkGroup2, 8
v_mov_b32 v8, v12                                  // temp store offset 0
v_mov_b32 v9, v13                                  // temp store offset 1
v_cmp_lt_u32 s[36:37], v0, s[sgprSizesFree+0]      // coord0 < size0
v_cmp_lt_u32 s[38:39], v1, s[sgprSizesFree+1]      // coord1 < size1
s_and_b64 s[40:41], s[36:37], s[38:39]             // in0 && in1
_v_add_co_u32 v12, vcc, v2, v8                     // addrVgpr = D + index*bytes (lo)
_v_addc_co_u32 v13, vcc, v3, v9, vcc               // addrVgpr = D + index*bytes (hi)
/* (d1,vc1,d0,vc0)=(5,1,1,0) */
_v_add_co_u32 v6, vcc, v0, 64                      // coord0.1: coord0 += d0*sg0*VW + vc0
GLOBAL_OFFSET_D 14, 6, 1, sgprWorkGroup2, 8
v_mov_b32 v8, v14                                  // temp store offset 0
v_mov_b32 v9, v15                                  // temp store offset 1
v_cmp_lt_u32 s[36:37], v6, s[sgprSizesFree+0]      // coord0 < size0
v_cmp_lt_u32 s[38:39], v1, s[sgprSizesFree+1]      // coord1 < size1
s_and_b64 s[42:43], s[36:37], s[38:39]             // in0 && in1
_v_add_co_u32 v14, vcc, v2, v8                     // addrVgpr = D + index*bytes (lo)
_v_addc_co_u32 v15, vcc, v3, v9, vcc               // addrVgpr = D + index*bytes (hi)
v_accvgpr_read_b32 v[vgprValuC+11], acc37 // copy acc to vreg[42]
v_accvgpr_read_b32 v[vgprValuC+16], acc53 // copy acc to vreg[43]
s_nop 1                                            // 2 wait states required before reading vgpr

/* rC *= alpha batchElements=[(5, 0, 1, 0), (5, 1, 1, 0)] */
v_mul_f32 v[vgprValuC+11], s[sgprAlpha], v[vgprValuC+11] // *= alpha
v_mul_f32 v[vgprValuC+16], s[sgprAlpha], v[vgprValuC+16] // *= alpha

/* apply mask, calc new C and issue writes */
s_mov_b64 exec, s[40:41]                           // sgprs -> exec
_global_store_b32 v[12:13], v11, off               // store D
s_mov_b64 exec, s[42:43]                           // sgprs -> exec
_global_store_b32 v[14:15], v16, off               // store D
s_mov_b64 exec, -1                                 // full mask -> exec
s_nop 0                                            // 1 wait state required when next inst writes vgprs held by previous dwordx4 store inst
/* optSingleColVgpr=0 optSharedColVgpr=0 optSGPRUsage=None optSrdIncForRow=0 */

/******************************************/
/* Global Write Alpha Edge Batch #22 (d1,d0,vc1,vc0) = */
/*    (5,0,2,0:vw1); (5,1,2,0:vw1)        */
/******************************************/

/* calc coords, apply mask, and issue loads (if necessary) */
/* (d1,vc1,d0,vc0)=(5,2,0,0) */
_v_add_co_u32 v1, vcc, v1, 1                       // coord1.1: coord1Vgpr += d1*sg1*VW + vc1
GLOBAL_OFFSET_D 12, 0, 1, sgprWorkGroup2, 8
v_mov_b32 v8, v12                                  // temp store offset 0
v_mov_b32 v9, v13                                  // temp store offset 1
v_cmp_lt_u32 s[36:37], v0, s[sgprSizesFree+0]      // coord0 < size0
v_cmp_lt_u32 s[38:39], v1, s[sgprSizesFree+1]      // coord1 < size1
s_and_b64 s[40:41], s[36:37], s[38:39]             // in0 && in1
_v_add_co_u32 v12, vcc, v2, v8                     // addrVgpr = D + index*bytes (lo)
_v_addc_co_u32 v13, vcc, v3, v9, vcc               // addrVgpr = D + index*bytes (hi)
/* (d1,vc1,d0,vc0)=(5,2,1,0) */
_v_add_co_u32 v6, vcc, v0, 64                      // coord0.1: coord0 += d0*sg0*VW + vc0
GLOBAL_OFFSET_D 14, 6, 1, sgprWorkGroup2, 8
v_mov_b32 v8, v14                                  // temp store offset 0
v_mov_b32 v9, v15                                  // temp store offset 1
v_cmp_lt_u32 s[36:37], v6, s[sgprSizesFree+0]      // coord0 < size0
v_cmp_lt_u32 s[38:39], v1, s[sgprSizesFree+1]      // coord1 < size1
s_and_b64 s[42:43], s[36:37], s[38:39]             // in0 && in1
_v_add_co_u32 v14, vcc, v2, v8                     // addrVgpr = D + index*bytes (lo)
_v_addc_co_u32 v15, vcc, v3, v9, vcc               // addrVgpr = D + index*bytes (hi)
v_accvgpr_read_b32 v[vgprValuC+11], acc38 // copy acc to vreg[44]
v_accvgpr_read_b32 v[vgprValuC+16], acc54 // copy acc to vreg[45]
s_nop 1                                            // 2 wait states required before reading vgpr

/* rC *= alpha batchElements=[(5, 0, 2, 0), (5, 1, 2, 0)] */
v_mul_f32 v[vgprValuC+11], s[sgprAlpha], v[vgprValuC+11] // *= alpha
v_mul_f32 v[vgprValuC+16], s[sgprAlpha], v[vgprValuC+16] // *= alpha

/* apply mask, calc new C and issue writes */
s_mov_b64 exec, s[40:41]                           // sgprs -> exec
_global_store_b32 v[12:13], v11, off               // store D
s_mov_b64 exec, s[42:43]                           // sgprs -> exec
_global_store_b32 v[14:15], v16, off               // store D
s_mov_b64 exec, -1                                 // full mask -> exec
s_nop 0                                            // 1 wait state required when next inst writes vgprs held by previous dwordx4 store inst
/* optSingleColVgpr=0 optSharedColVgpr=0 optSGPRUsage=None optSrdIncForRow=0 */

/******************************************/
/* Global Write Alpha Edge Batch #23 (d1,d0,vc1,vc0) = */
/*    (5,0,3,0:vw1); (5,1,3,0:vw1)        */
/******************************************/

/* calc coords, apply mask, and issue loads (if necessary) */
/* (d1,vc1,d0,vc0)=(5,3,0,0) */
_v_add_co_u32 v1, vcc, v1, 1                       // coord1.1: coord1Vgpr += d1*sg1*VW + vc1
GLOBAL_OFFSET_D 12, 0, 1, sgprWorkGroup2, 8
v_mov_b32 v8, v12                                  // temp store offset 0
v_mov_b32 v9, v13                                  // temp store offset 1
v_cmp_lt_u32 s[36:37], v0, s[sgprSizesFree+0]      // coord0 < size0
v_cmp_lt_u32 s[38:39], v1, s[sgprSizesFree+1]      // coord1 < size1
s_and_b64 s[40:41], s[36:37], s[38:39]             // in0 && in1
_v_add_co_u32 v12, vcc, v2, v8                     // addrVgpr = D + index*bytes (lo)
_v_addc_co_u32 v13, vcc, v3, v9, vcc               // addrVgpr = D + index*bytes (hi)
/* (d1,vc1,d0,vc0)=(5,3,1,0) */
_v_add_co_u32 v6, vcc, v0, 64                      // coord0.1: coord0 += d0*sg0*VW + vc0
GLOBAL_OFFSET_D 14, 6, 1, sgprWorkGroup2, 8
v_mov_b32 v8, v14                                  // temp store offset 0
v_mov_b32 v9, v15                                  // temp store offset 1
v_cmp_lt_u32 s[36:37], v6, s[sgprSizesFree+0]      // coord0 < size0
v_cmp_lt_u32 s[38:39], v1, s[sgprSizesFree+1]      // coord1 < size1
s_and_b64 s[42:43], s[36:37], s[38:39]             // in0 && in1
_v_add_co_u32 v14, vcc, v2, v8                     // addrVgpr = D + index*bytes (lo)
_v_addc_co_u32 v15, vcc, v3, v9, vcc               // addrVgpr = D + index*bytes (hi)
v_accvgpr_read_b32 v[vgprValuC+11], acc39 // copy acc to vreg[46]
v_accvgpr_read_b32 v[vgprValuC+16], acc55 // copy acc to vreg[47]
s_nop 1                                            // 2 wait states required before reading vgpr

/* rC *= alpha batchElements=[(5, 0, 3, 0), (5, 1, 3, 0)] */
v_mul_f32 v[vgprValuC+11], s[sgprAlpha], v[vgprValuC+11] // *= alpha
v_mul_f32 v[vgprValuC+16], s[sgprAlpha], v[vgprValuC+16] // *= alpha

/* apply mask, calc new C and issue writes */
s_mov_b64 exec, s[40:41]                           // sgprs -> exec
_global_store_b32 v[12:13], v11, off               // store D
s_mov_b64 exec, s[42:43]                           // sgprs -> exec
_global_store_b32 v[14:15], v16, off               // store D
s_mov_b64 exec, -1                                 // full mask -> exec
s_nop 0                                            // 1 wait state required when next inst writes vgprs held by previous dwordx4 store inst
/* optSingleColVgpr=0 optSharedColVgpr=0 optSGPRUsage=None optSrdIncForRow=0 */

/******************************************/
/* Global Write Alpha Edge Batch #24 (d1,d0,vc1,vc0) = */
/*    (6,0,0,0:vw1); (6,1,0,0:vw1)        */
/******************************************/

/* calc coords, apply mask, and issue loads (if necessary) */
/* (d1,vc1,d0,vc0)=(6,0,0,0) */
_v_add_co_u32 v1, vcc, v1, 5                       // coord1.1: coord1Vgpr += d1*sg1*VW + vc1
GLOBAL_OFFSET_D 12, 0, 1, sgprWorkGroup2, 8
v_mov_b32 v8, v12                                  // temp store offset 0
v_mov_b32 v9, v13                                  // temp store offset 1
v_cmp_lt_u32 s[36:37], v0, s[sgprSizesFree+0]      // coord0 < size0
v_cmp_lt_u32 s[38:39], v1, s[sgprSizesFree+1]      // coord1 < size1
s_and_b64 s[40:41], s[36:37], s[38:39]             // in0 && in1
_v_add_co_u32 v12, vcc, v2, v8                     // addrVgpr = D + index*bytes (lo)
_v_addc_co_u32 v13, vcc, v3, v9, vcc               // addrVgpr = D + index*bytes (hi)
/* (d1,vc1,d0,vc0)=(6,0,1,0) */
_v_add_co_u32 v6, vcc, v0, 64                      // coord0.1: coord0 += d0*sg0*VW + vc0
GLOBAL_OFFSET_D 14, 6, 1, sgprWorkGroup2, 8
v_mov_b32 v8, v14                                  // temp store offset 0
v_mov_b32 v9, v15                                  // temp store offset 1
v_cmp_lt_u32 s[36:37], v6, s[sgprSizesFree+0]      // coord0 < size0
v_cmp_lt_u32 s[38:39], v1, s[sgprSizesFree+1]      // coord1 < size1
s_and_b64 s[42:43], s[36:37], s[38:39]             // in0 && in1
_v_add_co_u32 v14, vcc, v2, v8                     // addrVgpr = D + index*bytes (lo)
_v_addc_co_u32 v15, vcc, v3, v9, vcc               // addrVgpr = D + index*bytes (hi)
v_accvgpr_read_b32 v[vgprValuC+11], acc40 // copy acc to vreg[48]
v_accvgpr_read_b32 v[vgprValuC+16], acc56 // copy acc to vreg[49]
s_nop 1                                            // 2 wait states required before reading vgpr

/* rC *= alpha batchElements=[(6, 0, 0, 0), (6, 1, 0, 0)] */
v_mul_f32 v[vgprValuC+11], s[sgprAlpha], v[vgprValuC+11] // *= alpha
v_mul_f32 v[vgprValuC+16], s[sgprAlpha], v[vgprValuC+16] // *= alpha

/* apply mask, calc new C and issue writes */
s_mov_b64 exec, s[40:41]                           // sgprs -> exec
_global_store_b32 v[12:13], v11, off               // store D
s_mov_b64 exec, s[42:43]                           // sgprs -> exec
_global_store_b32 v[14:15], v16, off               // store D
s_mov_b64 exec, -1                                 // full mask -> exec
s_nop 0                                            // 1 wait state required when next inst writes vgprs held by previous dwordx4 store inst
/* optSingleColVgpr=0 optSharedColVgpr=0 optSGPRUsage=None optSrdIncForRow=0 */

/******************************************/
/* Global Write Alpha Edge Batch #25 (d1,d0,vc1,vc0) = */
/*    (6,0,1,0:vw1); (6,1,1,0:vw1)        */
/******************************************/

/* calc coords, apply mask, and issue loads (if necessary) */
/* (d1,vc1,d0,vc0)=(6,1,0,0) */
_v_add_co_u32 v1, vcc, v1, 1                       // coord1.1: coord1Vgpr += d1*sg1*VW + vc1
GLOBAL_OFFSET_D 12, 0, 1, sgprWorkGroup2, 8
v_mov_b32 v8, v12                                  // temp store offset 0
v_mov_b32 v9, v13                                  // temp store offset 1
v_cmp_lt_u32 s[36:37], v0, s[sgprSizesFree+0]      // coord0 < size0
v_cmp_lt_u32 s[38:39], v1, s[sgprSizesFree+1]      // coord1 < size1
s_and_b64 s[40:41], s[36:37], s[38:39]             // in0 && in1
_v_add_co_u32 v12, vcc, v2, v8                     // addrVgpr = D + index*bytes (lo)
_v_addc_co_u32 v13, vcc, v3, v9, vcc               // addrVgpr = D + index*bytes (hi)
/* (d1,vc1,d0,vc0)=(6,1,1,0) */
_v_add_co_u32 v6, vcc, v0, 64                      // coord0.1: coord0 += d0*sg0*VW + vc0
GLOBAL_OFFSET_D 14, 6, 1, sgprWorkGroup2, 8
v_mov_b32 v8, v14                                  // temp store offset 0
v_mov_b32 v9, v15                                  // temp store offset 1
v_cmp_lt_u32 s[36:37], v6, s[sgprSizesFree+0]      // coord0 < size0
v_cmp_lt_u32 s[38:39], v1, s[sgprSizesFree+1]      // coord1 < size1
s_and_b64 s[42:43], s[36:37], s[38:39]             // in0 && in1
_v_add_co_u32 v14, vcc, v2, v8                     // addrVgpr = D + index*bytes (lo)
_v_addc_co_u32 v15, vcc, v3, v9, vcc               // addrVgpr = D + index*bytes (hi)
v_accvgpr_read_b32 v[vgprValuC+11], acc41 // copy acc to vreg[50]
v_accvgpr_read_b32 v[vgprValuC+16], acc57 // copy acc to vreg[51]
s_nop 1                                            // 2 wait states required before reading vgpr

/* rC *= alpha batchElements=[(6, 0, 1, 0), (6, 1, 1, 0)] */
v_mul_f32 v[vgprValuC+11], s[sgprAlpha], v[vgprValuC+11] // *= alpha
v_mul_f32 v[vgprValuC+16], s[sgprAlpha], v[vgprValuC+16] // *= alpha

/* apply mask, calc new C and issue writes */
s_mov_b64 exec, s[40:41]                           // sgprs -> exec
_global_store_b32 v[12:13], v11, off               // store D
s_mov_b64 exec, s[42:43]                           // sgprs -> exec
_global_store_b32 v[14:15], v16, off               // store D
s_mov_b64 exec, -1                                 // full mask -> exec
s_nop 0                                            // 1 wait state required when next inst writes vgprs held by previous dwordx4 store inst
/* optSingleColVgpr=0 optSharedColVgpr=0 optSGPRUsage=None optSrdIncForRow=0 */

/******************************************/
/* Global Write Alpha Edge Batch #26 (d1,d0,vc1,vc0) = */
/*    (6,0,2,0:vw1); (6,1,2,0:vw1)        */
/******************************************/

/* calc coords, apply mask, and issue loads (if necessary) */
/* (d1,vc1,d0,vc0)=(6,2,0,0) */
_v_add_co_u32 v1, vcc, v1, 1                       // coord1.1: coord1Vgpr += d1*sg1*VW + vc1
GLOBAL_OFFSET_D 12, 0, 1, sgprWorkGroup2, 8
v_mov_b32 v8, v12                                  // temp store offset 0
v_mov_b32 v9, v13                                  // temp store offset 1
v_cmp_lt_u32 s[36:37], v0, s[sgprSizesFree+0]      // coord0 < size0
v_cmp_lt_u32 s[38:39], v1, s[sgprSizesFree+1]      // coord1 < size1
s_and_b64 s[40:41], s[36:37], s[38:39]             // in0 && in1
_v_add_co_u32 v12, vcc, v2, v8                     // addrVgpr = D + index*bytes (lo)
_v_addc_co_u32 v13, vcc, v3, v9, vcc               // addrVgpr = D + index*bytes (hi)
/* (d1,vc1,d0,vc0)=(6,2,1,0) */
_v_add_co_u32 v6, vcc, v0, 64                      // coord0.1: coord0 += d0*sg0*VW + vc0
GLOBAL_OFFSET_D 14, 6, 1, sgprWorkGroup2, 8
v_mov_b32 v8, v14                                  // temp store offset 0
v_mov_b32 v9, v15                                  // temp store offset 1
v_cmp_lt_u32 s[36:37], v6, s[sgprSizesFree+0]      // coord0 < size0
v_cmp_lt_u32 s[38:39], v1, s[sgprSizesFree+1]      // coord1 < size1
s_and_b64 s[42:43], s[36:37], s[38:39]             // in0 && in1
_v_add_co_u32 v14, vcc, v2, v8                     // addrVgpr = D + index*bytes (lo)
_v_addc_co_u32 v15, vcc, v3, v9, vcc               // addrVgpr = D + index*bytes (hi)
v_accvgpr_read_b32 v[vgprValuC+11], acc42 // copy acc to vreg[52]
v_accvgpr_read_b32 v[vgprValuC+16], acc58 // copy acc to vreg[53]
s_nop 1                                            // 2 wait states required before reading vgpr

/* rC *= alpha batchElements=[(6, 0, 2, 0), (6, 1, 2, 0)] */
v_mul_f32 v[vgprValuC+11], s[sgprAlpha], v[vgprValuC+11] // *= alpha
v_mul_f32 v[vgprValuC+16], s[sgprAlpha], v[vgprValuC+16] // *= alpha

/* apply mask, calc new C and issue writes */
s_mov_b64 exec, s[40:41]                           // sgprs -> exec
_global_store_b32 v[12:13], v11, off               // store D
s_mov_b64 exec, s[42:43]                           // sgprs -> exec
_global_store_b32 v[14:15], v16, off               // store D
s_mov_b64 exec, -1                                 // full mask -> exec
s_nop 0                                            // 1 wait state required when next inst writes vgprs held by previous dwordx4 store inst
/* optSingleColVgpr=0 optSharedColVgpr=0 optSGPRUsage=None optSrdIncForRow=0 */

/******************************************/
/* Global Write Alpha Edge Batch #27 (d1,d0,vc1,vc0) = */
/*    (6,0,3,0:vw1); (6,1,3,0:vw1)        */
/******************************************/

/* calc coords, apply mask, and issue loads (if necessary) */
/* (d1,vc1,d0,vc0)=(6,3,0,0) */
_v_add_co_u32 v1, vcc, v1, 1                       // coord1.1: coord1Vgpr += d1*sg1*VW + vc1
GLOBAL_OFFSET_D 12, 0, 1, sgprWorkGroup2, 8
v_mov_b32 v8, v12                                  // temp store offset 0
v_mov_b32 v9, v13                                  // temp store offset 1
v_cmp_lt_u32 s[36:37], v0, s[sgprSizesFree+0]      // coord0 < size0
v_cmp_lt_u32 s[38:39], v1, s[sgprSizesFree+1]      // coord1 < size1
s_and_b64 s[40:41], s[36:37], s[38:39]             // in0 && in1
_v_add_co_u32 v12, vcc, v2, v8                     // addrVgpr = D + index*bytes (lo)
_v_addc_co_u32 v13, vcc, v3, v9, vcc               // addrVgpr = D + index*bytes (hi)
/* (d1,vc1,d0,vc0)=(6,3,1,0) */
_v_add_co_u32 v6, vcc, v0, 64                      // coord0.1: coord0 += d0*sg0*VW + vc0
GLOBAL_OFFSET_D 14, 6, 1, sgprWorkGroup2, 8
v_mov_b32 v8, v14                                  // temp store offset 0
v_mov_b32 v9, v15                                  // temp store offset 1
v_cmp_lt_u32 s[36:37], v6, s[sgprSizesFree+0]      // coord0 < size0
v_cmp_lt_u32 s[38:39], v1, s[sgprSizesFree+1]      // coord1 < size1
s_and_b64 s[42:43], s[36:37], s[38:39]             // in0 && in1
_v_add_co_u32 v14, vcc, v2, v8                     // addrVgpr = D + index*bytes (lo)
_v_addc_co_u32 v15, vcc, v3, v9, vcc               // addrVgpr = D + index*bytes (hi)
v_accvgpr_read_b32 v[vgprValuC+11], acc43 // copy acc to vreg[54]
v_accvgpr_read_b32 v[vgprValuC+16], acc59 // copy acc to vreg[55]
s_nop 1                                            // 2 wait states required before reading vgpr

/* rC *= alpha batchElements=[(6, 0, 3, 0), (6, 1, 3, 0)] */
v_mul_f32 v[vgprValuC+11], s[sgprAlpha], v[vgprValuC+11] // *= alpha
v_mul_f32 v[vgprValuC+16], s[sgprAlpha], v[vgprValuC+16] // *= alpha

/* apply mask, calc new C and issue writes */
s_mov_b64 exec, s[40:41]                           // sgprs -> exec
_global_store_b32 v[12:13], v11, off               // store D
s_mov_b64 exec, s[42:43]                           // sgprs -> exec
_global_store_b32 v[14:15], v16, off               // store D
s_mov_b64 exec, -1                                 // full mask -> exec
s_nop 0                                            // 1 wait state required when next inst writes vgprs held by previous dwordx4 store inst
/* optSingleColVgpr=0 optSharedColVgpr=0 optSGPRUsage=None optSrdIncForRow=0 */

/******************************************/
/* Global Write Alpha Edge Batch #28 (d1,d0,vc1,vc0) = */
/*    (7,0,0,0:vw1); (7,1,0,0:vw1)        */
/******************************************/

/* calc coords, apply mask, and issue loads (if necessary) */
/* (d1,vc1,d0,vc0)=(7,0,0,0) */
_v_add_co_u32 v1, vcc, v1, 5                       // coord1.1: coord1Vgpr += d1*sg1*VW + vc1
GLOBAL_OFFSET_D 12, 0, 1, sgprWorkGroup2, 8
v_mov_b32 v8, v12                                  // temp store offset 0
v_mov_b32 v9, v13                                  // temp store offset 1
v_cmp_lt_u32 s[36:37], v0, s[sgprSizesFree+0]      // coord0 < size0
v_cmp_lt_u32 s[38:39], v1, s[sgprSizesFree+1]      // coord1 < size1
s_and_b64 s[40:41], s[36:37], s[38:39]             // in0 && in1
_v_add_co_u32 v12, vcc, v2, v8                     // addrVgpr = D + index*bytes (lo)
_v_addc_co_u32 v13, vcc, v3, v9, vcc               // addrVgpr = D + index*bytes (hi)
/* (d1,vc1,d0,vc0)=(7,0,1,0) */
_v_add_co_u32 v6, vcc, v0, 64                      // coord0.1: coord0 += d0*sg0*VW + vc0
GLOBAL_OFFSET_D 14, 6, 1, sgprWorkGroup2, 8
v_mov_b32 v8, v14                                  // temp store offset 0
v_mov_b32 v9, v15                                  // temp store offset 1
v_cmp_lt_u32 s[36:37], v6, s[sgprSizesFree+0]      // coord0 < size0
v_cmp_lt_u32 s[38:39], v1, s[sgprSizesFree+1]      // coord1 < size1
s_and_b64 s[42:43], s[36:37], s[38:39]             // in0 && in1
_v_add_co_u32 v14, vcc, v2, v8                     // addrVgpr = D + index*bytes (lo)
_v_addc_co_u32 v15, vcc, v3, v9, vcc               // addrVgpr = D + index*bytes (hi)
v_accvgpr_read_b32 v[vgprValuC+11], acc44 // copy acc to vreg[56]
v_accvgpr_read_b32 v[vgprValuC+16], acc60 // copy acc to vreg[57]
s_nop 1                                            // 2 wait states required before reading vgpr

/* rC *= alpha batchElements=[(7, 0, 0, 0), (7, 1, 0, 0)] */
v_mul_f32 v[vgprValuC+11], s[sgprAlpha], v[vgprValuC+11] // *= alpha
v_mul_f32 v[vgprValuC+16], s[sgprAlpha], v[vgprValuC+16] // *= alpha

/* apply mask, calc new C and issue writes */
s_mov_b64 exec, s[40:41]                           // sgprs -> exec
_global_store_b32 v[12:13], v11, off               // store D
s_mov_b64 exec, s[42:43]                           // sgprs -> exec
_global_store_b32 v[14:15], v16, off               // store D
s_mov_b64 exec, -1                                 // full mask -> exec
s_nop 0                                            // 1 wait state required when next inst writes vgprs held by previous dwordx4 store inst
/* optSingleColVgpr=0 optSharedColVgpr=0 optSGPRUsage=None optSrdIncForRow=0 */

/******************************************/
/* Global Write Alpha Edge Batch #29 (d1,d0,vc1,vc0) = */
/*    (7,0,1,0:vw1); (7,1,1,0:vw1)        */
/******************************************/

/* calc coords, apply mask, and issue loads (if necessary) */
/* (d1,vc1,d0,vc0)=(7,1,0,0) */
_v_add_co_u32 v1, vcc, v1, 1                       // coord1.1: coord1Vgpr += d1*sg1*VW + vc1
GLOBAL_OFFSET_D 12, 0, 1, sgprWorkGroup2, 8
v_mov_b32 v8, v12                                  // temp store offset 0
v_mov_b32 v9, v13                                  // temp store offset 1
v_cmp_lt_u32 s[36:37], v0, s[sgprSizesFree+0]      // coord0 < size0
v_cmp_lt_u32 s[38:39], v1, s[sgprSizesFree+1]      // coord1 < size1
s_and_b64 s[40:41], s[36:37], s[38:39]             // in0 && in1
_v_add_co_u32 v12, vcc, v2, v8                     // addrVgpr = D + index*bytes (lo)
_v_addc_co_u32 v13, vcc, v3, v9, vcc               // addrVgpr = D + index*bytes (hi)
/* (d1,vc1,d0,vc0)=(7,1,1,0) */
_v_add_co_u32 v6, vcc, v0, 64                      // coord0.1: coord0 += d0*sg0*VW + vc0
GLOBAL_OFFSET_D 14, 6, 1, sgprWorkGroup2, 8
v_mov_b32 v8, v14                                  // temp store offset 0
v_mov_b32 v9, v15                                  // temp store offset 1
v_cmp_lt_u32 s[36:37], v6, s[sgprSizesFree+0]      // coord0 < size0
v_cmp_lt_u32 s[38:39], v1, s[sgprSizesFree+1]      // coord1 < size1
s_and_b64 s[42:43], s[36:37], s[38:39]             // in0 && in1
_v_add_co_u32 v14, vcc, v2, v8                     // addrVgpr = D + index*bytes (lo)
_v_addc_co_u32 v15, vcc, v3, v9, vcc               // addrVgpr = D + index*bytes (hi)
v_accvgpr_read_b32 v[vgprValuC+11], acc45 // copy acc to vreg[58]
v_accvgpr_read_b32 v[vgprValuC+16], acc61 // copy acc to vreg[59]
s_nop 1                                            // 2 wait states required before reading vgpr

/* rC *= alpha batchElements=[(7, 0, 1, 0), (7, 1, 1, 0)] */
v_mul_f32 v[vgprValuC+11], s[sgprAlpha], v[vgprValuC+11] // *= alpha
v_mul_f32 v[vgprValuC+16], s[sgprAlpha], v[vgprValuC+16] // *= alpha

/* apply mask, calc new C and issue writes */
s_mov_b64 exec, s[40:41]                           // sgprs -> exec
_global_store_b32 v[12:13], v11, off               // store D
s_mov_b64 exec, s[42:43]                           // sgprs -> exec
_global_store_b32 v[14:15], v16, off               // store D
s_mov_b64 exec, -1                                 // full mask -> exec
s_nop 0                                            // 1 wait state required when next inst writes vgprs held by previous dwordx4 store inst
/* optSingleColVgpr=0 optSharedColVgpr=0 optSGPRUsage=None optSrdIncForRow=0 */

/******************************************/
/* Global Write Alpha Edge Batch #30 (d1,d0,vc1,vc0) = */
/*    (7,0,2,0:vw1); (7,1,2,0:vw1)        */
/******************************************/

/* calc coords, apply mask, and issue loads (if necessary) */
/* (d1,vc1,d0,vc0)=(7,2,0,0) */
_v_add_co_u32 v1, vcc, v1, 1                       // coord1.1: coord1Vgpr += d1*sg1*VW + vc1
GLOBAL_OFFSET_D 12, 0, 1, sgprWorkGroup2, 8
v_mov_b32 v8, v12                                  // temp store offset 0
v_mov_b32 v9, v13                                  // temp store offset 1
v_cmp_lt_u32 s[36:37], v0, s[sgprSizesFree+0]      // coord0 < size0
v_cmp_lt_u32 s[38:39], v1, s[sgprSizesFree+1]      // coord1 < size1
s_and_b64 s[40:41], s[36:37], s[38:39]             // in0 && in1
_v_add_co_u32 v12, vcc, v2, v8                     // addrVgpr = D + index*bytes (lo)
_v_addc_co_u32 v13, vcc, v3, v9, vcc               // addrVgpr = D + index*bytes (hi)
/* (d1,vc1,d0,vc0)=(7,2,1,0) */
_v_add_co_u32 v6, vcc, v0, 64                      // coord0.1: coord0 += d0*sg0*VW + vc0
GLOBAL_OFFSET_D 14, 6, 1, sgprWorkGroup2, 8
v_mov_b32 v8, v14                                  // temp store offset 0
v_mov_b32 v9, v15                                  // temp store offset 1
v_cmp_lt_u32 s[36:37], v6, s[sgprSizesFree+0]      // coord0 < size0
v_cmp_lt_u32 s[38:39], v1, s[sgprSizesFree+1]      // coord1 < size1
s_and_b64 s[42:43], s[36:37], s[38:39]             // in0 && in1
_v_add_co_u32 v14, vcc, v2, v8                     // addrVgpr = D + index*bytes (lo)
_v_addc_co_u32 v15, vcc, v3, v9, vcc               // addrVgpr = D + index*bytes (hi)
v_accvgpr_read_b32 v[vgprValuC+11], acc46 // copy acc to vreg[60]
v_accvgpr_read_b32 v[vgprValuC+16], acc62 // copy acc to vreg[61]
s_nop 1                                            // 2 wait states required before reading vgpr

/* rC *= alpha batchElements=[(7, 0, 2, 0), (7, 1, 2, 0)] */
v_mul_f32 v[vgprValuC+11], s[sgprAlpha], v[vgprValuC+11] // *= alpha
v_mul_f32 v[vgprValuC+16], s[sgprAlpha], v[vgprValuC+16] // *= alpha

/* apply mask, calc new C and issue writes */
s_mov_b64 exec, s[40:41]                           // sgprs -> exec
_global_store_b32 v[12:13], v11, off               // store D
s_mov_b64 exec, s[42:43]                           // sgprs -> exec
_global_store_b32 v[14:15], v16, off               // store D
s_mov_b64 exec, -1                                 // full mask -> exec
s_nop 0                                            // 1 wait state required when next inst writes vgprs held by previous dwordx4 store inst
/* optSingleColVgpr=0 optSharedColVgpr=0 optSGPRUsage=None optSrdIncForRow=0 */

/******************************************/
/* Global Write Alpha Edge Batch #31 (d1,d0,vc1,vc0) = */
/*    (7,0,3,0:vw1); (7,1,3,0:vw1)        */
/******************************************/

/* calc coords, apply mask, and issue loads (if necessary) */
/* (d1,vc1,d0,vc0)=(7,3,0,0) */
_v_add_co_u32 v1, vcc, v1, 1                       // coord1.1: coord1Vgpr += d1*sg1*VW + vc1
GLOBAL_OFFSET_D 12, 0, 1, sgprWorkGroup2, 8
v_mov_b32 v8, v12                                  // temp store offset 0
v_mov_b32 v9, v13                                  // temp store offset 1
v_cmp_lt_u32 s[36:37], v0, s[sgprSizesFree+0]      // coord0 < size0
v_cmp_lt_u32 s[38:39], v1, s[sgprSizesFree+1]      // coord1 < size1
s_and_b64 s[40:41], s[36:37], s[38:39]             // in0 && in1
_v_add_co_u32 v12, vcc, v2, v8                     // addrVgpr = D + index*bytes (lo)
_v_addc_co_u32 v13, vcc, v3, v9, vcc               // addrVgpr = D + index*bytes (hi)
/* (d1,vc1,d0,vc0)=(7,3,1,0) */
_v_add_co_u32 v6, vcc, v0, 64                      // coord0.1: coord0 += d0*sg0*VW + vc0
GLOBAL_OFFSET_D 14, 6, 1, sgprWorkGroup2, 8
v_mov_b32 v8, v14                                  // temp store offset 0
v_mov_b32 v9, v15                                  // temp store offset 1
v_cmp_lt_u32 s[36:37], v6, s[sgprSizesFree+0]      // coord0 < size0
v_cmp_lt_u32 s[38:39], v1, s[sgprSizesFree+1]      // coord1 < size1
s_and_b64 s[42:43], s[36:37], s[38:39]             // in0 && in1
_v_add_co_u32 v14, vcc, v2, v8                     // addrVgpr = D + index*bytes (lo)
_v_addc_co_u32 v15, vcc, v3, v9, vcc               // addrVgpr = D + index*bytes (hi)
v_accvgpr_read_b32 v[vgprValuC+11], acc47 // copy acc to vreg[62]
v_accvgpr_read_b32 v[vgprValuC+16], acc63 // copy acc to vreg[63]
s_nop 1                                            // 2 wait states required before reading vgpr

/* rC *= alpha batchElements=[(7, 0, 3, 0), (7, 1, 3, 0)] */
v_mul_f32 v[vgprValuC+11], s[sgprAlpha], v[vgprValuC+11] // *= alpha
v_mul_f32 v[vgprValuC+16], s[sgprAlpha], v[vgprValuC+16] // *= alpha

/* apply mask, calc new C and issue writes */
s_mov_b64 exec, s[40:41]                           // sgprs -> exec
_global_store_b32 v[12:13], v11, off               // store D
s_mov_b64 exec, s[42:43]                           // sgprs -> exec
_global_store_b32 v[14:15], v16, off               // store D
s_mov_b64 exec, -1                                 // full mask -> exec
s_nop 0                                            // 1 wait state required when next inst writes vgprs held by previous dwordx4 store inst
s_branch label_GW_End_32                           // jump to end
GW_Beta_33:
s_and_b32 s36, 127, s[sgprSizeI]                   // s36 = s[sgprSizeI] % 128
s_add_u32 s37, -0x1, s[sgprNumWorkGroups0]         // 
s_cmp_ge_u32 s[sgprWorkGroup0], s37                // wg0 >= nwg0-1 ?
s_cselect_b32 s36, s36, 0                          // set rMT0
s_cmpk_gt_u32 s36, 0x0                             // rMT0 > 0
s_cbranch_scc1 GW_B1_E1_31                         // jump if edges required
s_and_b32 s36, 127, s[sgprSizeJ]                   // s36 = s[sgprSizeJ] % 128
s_add_u32 s37, -0x1, s[sgprNumWorkGroups1]         // 
s_cmp_ge_u32 s[sgprWorkGroup1], s37                // wg1 >= nwg1-1
s_cselect_b32 s36, s36, 0                          // set rMT1
s_cmpk_gt_u32 s36, 0x0                             // rMT1 > 0
s_cbranch_scc1 GW_B1_E1_31                         // jump if edges required
GW_B1_E0_28:

/* edge=0, allocate 8 sgpr. perBatchTmpS=4 perBatchMaskS=0 perElementMaskS=2 elementsPerBatch=2 */
/* optSingleColVgpr=0 optSharedColVgpr=0 optSGPRUsage=None optSrdIncForRow=0 */

/******************************************/
/* Global Write Alpha Beta Batch #0 (d1,d0,vc1,vc0) = */
/*    (0,0,0,0:vw1); (0,1,0,0:vw1)        */
/******************************************/

/* calc coords, apply mask, and issue loads (if necessary) */
/* (d1,vc1,d0,vc0)=(0,0,0,0) */
GLOBAL_OFFSET_C 12, 0, 1, sgprWorkGroup2, 8
v_mov_b32 v8, v12                                  // temp store offset 0
v_mov_b32 v9, v13                                  // temp store offset 1
_v_add_co_u32 v12, vcc, v4, v8                     // addrVgpr = C + index*bytes (lo)
_v_addc_co_u32 v13, vcc, v5, v9, vcc               // addrVgpr = C + index*bytes (hi)
_global_load_b32 v11, v[12:13], off, offset:0      // load C for beta calc
GLOBAL_OFFSET_D 12, 0, 1, sgprWorkGroup2, 8
v_mov_b32 v8, v12                                  // temp store offset 0
v_mov_b32 v9, v13                                  // temp store offset 1
_v_add_co_u32 v12, vcc, v2, v8                     // addrVgpr = D + index*bytes (lo)
_v_addc_co_u32 v13, vcc, v3, v9, vcc               // addrVgpr = D + index*bytes (hi)
/* (d1,vc1,d0,vc0)=(0,0,1,0) */
_v_add_co_u32 v6, vcc, v0, 64                      // coord0.1: coord0 += d0*sg0*VW + vc0
GLOBAL_OFFSET_C 16, 6, 1, sgprWorkGroup2, 8
v_mov_b32 v8, v16                                  // temp store offset 0
v_mov_b32 v9, v17                                  // temp store offset 1
_v_add_co_u32 v16, vcc, v4, v8                     // addrVgpr = C + index*bytes (lo)
_v_addc_co_u32 v17, vcc, v5, v9, vcc               // addrVgpr = C + index*bytes (hi)
_global_load_b32 v15, v[16:17], off, offset:0      // load C for beta calc
GLOBAL_OFFSET_D 16, 6, 1, sgprWorkGroup2, 8
v_mov_b32 v8, v16                                  // temp store offset 0
v_mov_b32 v9, v17                                  // temp store offset 1
_v_add_co_u32 v16, vcc, v2, v8                     // addrVgpr = D + index*bytes (lo)
_v_addc_co_u32 v17, vcc, v3, v9, vcc               // addrVgpr = D + index*bytes (hi)
v_accvgpr_read_b32 v[vgprValuC+14], acc0 // copy acc to vreg[0]
v_accvgpr_read_b32 v[vgprValuC+18], acc16 // copy acc to vreg[1]
s_nop 1                                            // 2 wait states required before reading vgpr

/* rC *= alpha batchElements=[(0, 0, 0, 0), (0, 1, 0, 0)] */
v_mul_f32 v[vgprValuC+14], s[sgprAlpha], v[vgprValuC+14] // *= alpha
v_mul_f32 v[vgprValuC+18], s[sgprAlpha], v[vgprValuC+18] // *= alpha
s_waitcnt vmcnt(0)                                 // wait C

/* apply mask, calc new C and issue writes */
_v_mac_f32 v[vgprValuC+14], v11, s[sgprBeta]       // finalSum = sum*alpha + C*beta
_global_store_b32 v[12:13], v14, off               // store D
_v_mac_f32 v[vgprValuC+18], v15, s[sgprBeta]       // finalSum = sum*alpha + C*beta
_global_store_b32 v[16:17], v18, off               // store D
s_nop 0                                            // 1 wait state required when next inst writes vgprs held by previous dwordx4 store inst
/* optSingleColVgpr=0 optSharedColVgpr=0 optSGPRUsage=None optSrdIncForRow=0 */

/******************************************/
/* Global Write Alpha Beta Batch #1 (d1,d0,vc1,vc0) = */
/*    (0,0,1,0:vw1); (0,1,1,0:vw1)        */
/******************************************/

/* calc coords, apply mask, and issue loads (if necessary) */
/* (d1,vc1,d0,vc0)=(0,1,0,0) */
_v_add_co_u32 v1, vcc, v1, 1                       // coord1.1: coord1Vgpr += d1*sg1*VW + vc1
GLOBAL_OFFSET_C 12, 0, 1, sgprWorkGroup2, 8
v_mov_b32 v8, v12                                  // temp store offset 0
v_mov_b32 v9, v13                                  // temp store offset 1
_v_add_co_u32 v12, vcc, v4, v8                     // addrVgpr = C + index*bytes (lo)
_v_addc_co_u32 v13, vcc, v5, v9, vcc               // addrVgpr = C + index*bytes (hi)
_global_load_b32 v11, v[12:13], off, offset:0      // load C for beta calc
GLOBAL_OFFSET_D 12, 0, 1, sgprWorkGroup2, 8
v_mov_b32 v8, v12                                  // temp store offset 0
v_mov_b32 v9, v13                                  // temp store offset 1
_v_add_co_u32 v12, vcc, v2, v8                     // addrVgpr = D + index*bytes (lo)
_v_addc_co_u32 v13, vcc, v3, v9, vcc               // addrVgpr = D + index*bytes (hi)
/* (d1,vc1,d0,vc0)=(0,1,1,0) */
_v_add_co_u32 v6, vcc, v0, 64                      // coord0.1: coord0 += d0*sg0*VW + vc0
GLOBAL_OFFSET_C 16, 6, 1, sgprWorkGroup2, 8
v_mov_b32 v8, v16                                  // temp store offset 0
v_mov_b32 v9, v17                                  // temp store offset 1
_v_add_co_u32 v16, vcc, v4, v8                     // addrVgpr = C + index*bytes (lo)
_v_addc_co_u32 v17, vcc, v5, v9, vcc               // addrVgpr = C + index*bytes (hi)
_global_load_b32 v15, v[16:17], off, offset:0      // load C for beta calc
GLOBAL_OFFSET_D 16, 6, 1, sgprWorkGroup2, 8
v_mov_b32 v8, v16                                  // temp store offset 0
v_mov_b32 v9, v17                                  // temp store offset 1
_v_add_co_u32 v16, vcc, v2, v8                     // addrVgpr = D + index*bytes (lo)
_v_addc_co_u32 v17, vcc, v3, v9, vcc               // addrVgpr = D + index*bytes (hi)
v_accvgpr_read_b32 v[vgprValuC+14], acc1 // copy acc to vreg[2]
v_accvgpr_read_b32 v[vgprValuC+18], acc17 // copy acc to vreg[3]
s_nop 1                                            // 2 wait states required before reading vgpr

/* rC *= alpha batchElements=[(0, 0, 1, 0), (0, 1, 1, 0)] */
v_mul_f32 v[vgprValuC+14], s[sgprAlpha], v[vgprValuC+14] // *= alpha
v_mul_f32 v[vgprValuC+18], s[sgprAlpha], v[vgprValuC+18] // *= alpha
s_waitcnt vmcnt(0)                                 // wait C

/* apply mask, calc new C and issue writes */
_v_mac_f32 v[vgprValuC+14], v11, s[sgprBeta]       // finalSum = sum*alpha + C*beta
_global_store_b32 v[12:13], v14, off               // store D
_v_mac_f32 v[vgprValuC+18], v15, s[sgprBeta]       // finalSum = sum*alpha + C*beta
_global_store_b32 v[16:17], v18, off               // store D
s_nop 0                                            // 1 wait state required when next inst writes vgprs held by previous dwordx4 store inst
/* optSingleColVgpr=0 optSharedColVgpr=0 optSGPRUsage=None optSrdIncForRow=0 */

/******************************************/
/* Global Write Alpha Beta Batch #2 (d1,d0,vc1,vc0) = */
/*    (0,0,2,0:vw1); (0,1,2,0:vw1)        */
/******************************************/

/* calc coords, apply mask, and issue loads (if necessary) */
/* (d1,vc1,d0,vc0)=(0,2,0,0) */
_v_add_co_u32 v1, vcc, v1, 1                       // coord1.1: coord1Vgpr += d1*sg1*VW + vc1
GLOBAL_OFFSET_C 12, 0, 1, sgprWorkGroup2, 8
v_mov_b32 v8, v12                                  // temp store offset 0
v_mov_b32 v9, v13                                  // temp store offset 1
_v_add_co_u32 v12, vcc, v4, v8                     // addrVgpr = C + index*bytes (lo)
_v_addc_co_u32 v13, vcc, v5, v9, vcc               // addrVgpr = C + index*bytes (hi)
_global_load_b32 v11, v[12:13], off, offset:0      // load C for beta calc
GLOBAL_OFFSET_D 12, 0, 1, sgprWorkGroup2, 8
v_mov_b32 v8, v12                                  // temp store offset 0
v_mov_b32 v9, v13                                  // temp store offset 1
_v_add_co_u32 v12, vcc, v2, v8                     // addrVgpr = D + index*bytes (lo)
_v_addc_co_u32 v13, vcc, v3, v9, vcc               // addrVgpr = D + index*bytes (hi)
/* (d1,vc1,d0,vc0)=(0,2,1,0) */
_v_add_co_u32 v6, vcc, v0, 64                      // coord0.1: coord0 += d0*sg0*VW + vc0
GLOBAL_OFFSET_C 16, 6, 1, sgprWorkGroup2, 8
v_mov_b32 v8, v16                                  // temp store offset 0
v_mov_b32 v9, v17                                  // temp store offset 1
_v_add_co_u32 v16, vcc, v4, v8                     // addrVgpr = C + index*bytes (lo)
_v_addc_co_u32 v17, vcc, v5, v9, vcc               // addrVgpr = C + index*bytes (hi)
_global_load_b32 v15, v[16:17], off, offset:0      // load C for beta calc
GLOBAL_OFFSET_D 16, 6, 1, sgprWorkGroup2, 8
v_mov_b32 v8, v16                                  // temp store offset 0
v_mov_b32 v9, v17                                  // temp store offset 1
_v_add_co_u32 v16, vcc, v2, v8                     // addrVgpr = D + index*bytes (lo)
_v_addc_co_u32 v17, vcc, v3, v9, vcc               // addrVgpr = D + index*bytes (hi)
v_accvgpr_read_b32 v[vgprValuC+14], acc2 // copy acc to vreg[4]
v_accvgpr_read_b32 v[vgprValuC+18], acc18 // copy acc to vreg[5]
s_nop 1                                            // 2 wait states required before reading vgpr

/* rC *= alpha batchElements=[(0, 0, 2, 0), (0, 1, 2, 0)] */
v_mul_f32 v[vgprValuC+14], s[sgprAlpha], v[vgprValuC+14] // *= alpha
v_mul_f32 v[vgprValuC+18], s[sgprAlpha], v[vgprValuC+18] // *= alpha
s_waitcnt vmcnt(0)                                 // wait C

/* apply mask, calc new C and issue writes */
_v_mac_f32 v[vgprValuC+14], v11, s[sgprBeta]       // finalSum = sum*alpha + C*beta
_global_store_b32 v[12:13], v14, off               // store D
_v_mac_f32 v[vgprValuC+18], v15, s[sgprBeta]       // finalSum = sum*alpha + C*beta
_global_store_b32 v[16:17], v18, off               // store D
s_nop 0                                            // 1 wait state required when next inst writes vgprs held by previous dwordx4 store inst
/* optSingleColVgpr=0 optSharedColVgpr=0 optSGPRUsage=None optSrdIncForRow=0 */

/******************************************/
/* Global Write Alpha Beta Batch #3 (d1,d0,vc1,vc0) = */
/*    (0,0,3,0:vw1); (0,1,3,0:vw1)        */
/******************************************/

/* calc coords, apply mask, and issue loads (if necessary) */
/* (d1,vc1,d0,vc0)=(0,3,0,0) */
_v_add_co_u32 v1, vcc, v1, 1                       // coord1.1: coord1Vgpr += d1*sg1*VW + vc1
GLOBAL_OFFSET_C 12, 0, 1, sgprWorkGroup2, 8
v_mov_b32 v8, v12                                  // temp store offset 0
v_mov_b32 v9, v13                                  // temp store offset 1
_v_add_co_u32 v12, vcc, v4, v8                     // addrVgpr = C + index*bytes (lo)
_v_addc_co_u32 v13, vcc, v5, v9, vcc               // addrVgpr = C + index*bytes (hi)
_global_load_b32 v11, v[12:13], off, offset:0      // load C for beta calc
GLOBAL_OFFSET_D 12, 0, 1, sgprWorkGroup2, 8
v_mov_b32 v8, v12                                  // temp store offset 0
v_mov_b32 v9, v13                                  // temp store offset 1
_v_add_co_u32 v12, vcc, v2, v8                     // addrVgpr = D + index*bytes (lo)
_v_addc_co_u32 v13, vcc, v3, v9, vcc               // addrVgpr = D + index*bytes (hi)
/* (d1,vc1,d0,vc0)=(0,3,1,0) */
_v_add_co_u32 v6, vcc, v0, 64                      // coord0.1: coord0 += d0*sg0*VW + vc0
GLOBAL_OFFSET_C 16, 6, 1, sgprWorkGroup2, 8
v_mov_b32 v8, v16                                  // temp store offset 0
v_mov_b32 v9, v17                                  // temp store offset 1
_v_add_co_u32 v16, vcc, v4, v8                     // addrVgpr = C + index*bytes (lo)
_v_addc_co_u32 v17, vcc, v5, v9, vcc               // addrVgpr = C + index*bytes (hi)
_global_load_b32 v15, v[16:17], off, offset:0      // load C for beta calc
GLOBAL_OFFSET_D 16, 6, 1, sgprWorkGroup2, 8
v_mov_b32 v8, v16                                  // temp store offset 0
v_mov_b32 v9, v17                                  // temp store offset 1
_v_add_co_u32 v16, vcc, v2, v8                     // addrVgpr = D + index*bytes (lo)
_v_addc_co_u32 v17, vcc, v3, v9, vcc               // addrVgpr = D + index*bytes (hi)
v_accvgpr_read_b32 v[vgprValuC+14], acc3 // copy acc to vreg[6]
v_accvgpr_read_b32 v[vgprValuC+18], acc19 // copy acc to vreg[7]
s_nop 1                                            // 2 wait states required before reading vgpr

/* rC *= alpha batchElements=[(0, 0, 3, 0), (0, 1, 3, 0)] */
v_mul_f32 v[vgprValuC+14], s[sgprAlpha], v[vgprValuC+14] // *= alpha
v_mul_f32 v[vgprValuC+18], s[sgprAlpha], v[vgprValuC+18] // *= alpha
s_waitcnt vmcnt(0)                                 // wait C

/* apply mask, calc new C and issue writes */
_v_mac_f32 v[vgprValuC+14], v11, s[sgprBeta]       // finalSum = sum*alpha + C*beta
_global_store_b32 v[12:13], v14, off               // store D
_v_mac_f32 v[vgprValuC+18], v15, s[sgprBeta]       // finalSum = sum*alpha + C*beta
_global_store_b32 v[16:17], v18, off               // store D
s_nop 0                                            // 1 wait state required when next inst writes vgprs held by previous dwordx4 store inst
/* optSingleColVgpr=0 optSharedColVgpr=0 optSGPRUsage=None optSrdIncForRow=0 */

/******************************************/
/* Global Write Alpha Beta Batch #4 (d1,d0,vc1,vc0) = */
/*    (1,0,0,0:vw1); (1,1,0,0:vw1)        */
/******************************************/

/* calc coords, apply mask, and issue loads (if necessary) */
/* (d1,vc1,d0,vc0)=(1,0,0,0) */
_v_add_co_u32 v1, vcc, v1, 5                       // coord1.1: coord1Vgpr += d1*sg1*VW + vc1
GLOBAL_OFFSET_C 12, 0, 1, sgprWorkGroup2, 8
v_mov_b32 v8, v12                                  // temp store offset 0
v_mov_b32 v9, v13                                  // temp store offset 1
_v_add_co_u32 v12, vcc, v4, v8                     // addrVgpr = C + index*bytes (lo)
_v_addc_co_u32 v13, vcc, v5, v9, vcc               // addrVgpr = C + index*bytes (hi)
_global_load_b32 v11, v[12:13], off, offset:0      // load C for beta calc
GLOBAL_OFFSET_D 12, 0, 1, sgprWorkGroup2, 8
v_mov_b32 v8, v12                                  // temp store offset 0
v_mov_b32 v9, v13                                  // temp store offset 1
_v_add_co_u32 v12, vcc, v2, v8                     // addrVgpr = D + index*bytes (lo)
_v_addc_co_u32 v13, vcc, v3, v9, vcc               // addrVgpr = D + index*bytes (hi)
/* (d1,vc1,d0,vc0)=(1,0,1,0) */
_v_add_co_u32 v6, vcc, v0, 64                      // coord0.1: coord0 += d0*sg0*VW + vc0
GLOBAL_OFFSET_C 16, 6, 1, sgprWorkGroup2, 8
v_mov_b32 v8, v16                                  // temp store offset 0
v_mov_b32 v9, v17                                  // temp store offset 1
_v_add_co_u32 v16, vcc, v4, v8                     // addrVgpr = C + index*bytes (lo)
_v_addc_co_u32 v17, vcc, v5, v9, vcc               // addrVgpr = C + index*bytes (hi)
_global_load_b32 v15, v[16:17], off, offset:0      // load C for beta calc
GLOBAL_OFFSET_D 16, 6, 1, sgprWorkGroup2, 8
v_mov_b32 v8, v16                                  // temp store offset 0
v_mov_b32 v9, v17                                  // temp store offset 1
_v_add_co_u32 v16, vcc, v2, v8                     // addrVgpr = D + index*bytes (lo)
_v_addc_co_u32 v17, vcc, v3, v9, vcc               // addrVgpr = D + index*bytes (hi)
v_accvgpr_read_b32 v[vgprValuC+14], acc4 // copy acc to vreg[8]
v_accvgpr_read_b32 v[vgprValuC+18], acc20 // copy acc to vreg[9]
s_nop 1                                            // 2 wait states required before reading vgpr

/* rC *= alpha batchElements=[(1, 0, 0, 0), (1, 1, 0, 0)] */
v_mul_f32 v[vgprValuC+14], s[sgprAlpha], v[vgprValuC+14] // *= alpha
v_mul_f32 v[vgprValuC+18], s[sgprAlpha], v[vgprValuC+18] // *= alpha
s_waitcnt vmcnt(0)                                 // wait C

/* apply mask, calc new C and issue writes */
_v_mac_f32 v[vgprValuC+14], v11, s[sgprBeta]       // finalSum = sum*alpha + C*beta
_global_store_b32 v[12:13], v14, off               // store D
_v_mac_f32 v[vgprValuC+18], v15, s[sgprBeta]       // finalSum = sum*alpha + C*beta
_global_store_b32 v[16:17], v18, off               // store D
s_nop 0                                            // 1 wait state required when next inst writes vgprs held by previous dwordx4 store inst
/* optSingleColVgpr=0 optSharedColVgpr=0 optSGPRUsage=None optSrdIncForRow=0 */

/******************************************/
/* Global Write Alpha Beta Batch #5 (d1,d0,vc1,vc0) = */
/*    (1,0,1,0:vw1); (1,1,1,0:vw1)        */
/******************************************/

/* calc coords, apply mask, and issue loads (if necessary) */
/* (d1,vc1,d0,vc0)=(1,1,0,0) */
_v_add_co_u32 v1, vcc, v1, 1                       // coord1.1: coord1Vgpr += d1*sg1*VW + vc1
GLOBAL_OFFSET_C 12, 0, 1, sgprWorkGroup2, 8
v_mov_b32 v8, v12                                  // temp store offset 0
v_mov_b32 v9, v13                                  // temp store offset 1
_v_add_co_u32 v12, vcc, v4, v8                     // addrVgpr = C + index*bytes (lo)
_v_addc_co_u32 v13, vcc, v5, v9, vcc               // addrVgpr = C + index*bytes (hi)
_global_load_b32 v11, v[12:13], off, offset:0      // load C for beta calc
GLOBAL_OFFSET_D 12, 0, 1, sgprWorkGroup2, 8
v_mov_b32 v8, v12                                  // temp store offset 0
v_mov_b32 v9, v13                                  // temp store offset 1
_v_add_co_u32 v12, vcc, v2, v8                     // addrVgpr = D + index*bytes (lo)
_v_addc_co_u32 v13, vcc, v3, v9, vcc               // addrVgpr = D + index*bytes (hi)
/* (d1,vc1,d0,vc0)=(1,1,1,0) */
_v_add_co_u32 v6, vcc, v0, 64                      // coord0.1: coord0 += d0*sg0*VW + vc0
GLOBAL_OFFSET_C 16, 6, 1, sgprWorkGroup2, 8
v_mov_b32 v8, v16                                  // temp store offset 0
v_mov_b32 v9, v17                                  // temp store offset 1
_v_add_co_u32 v16, vcc, v4, v8                     // addrVgpr = C + index*bytes (lo)
_v_addc_co_u32 v17, vcc, v5, v9, vcc               // addrVgpr = C + index*bytes (hi)
_global_load_b32 v15, v[16:17], off, offset:0      // load C for beta calc
GLOBAL_OFFSET_D 16, 6, 1, sgprWorkGroup2, 8
v_mov_b32 v8, v16                                  // temp store offset 0
v_mov_b32 v9, v17                                  // temp store offset 1
_v_add_co_u32 v16, vcc, v2, v8                     // addrVgpr = D + index*bytes (lo)
_v_addc_co_u32 v17, vcc, v3, v9, vcc               // addrVgpr = D + index*bytes (hi)
v_accvgpr_read_b32 v[vgprValuC+14], acc5 // copy acc to vreg[10]
v_accvgpr_read_b32 v[vgprValuC+18], acc21 // copy acc to vreg[11]
s_nop 1                                            // 2 wait states required before reading vgpr

/* rC *= alpha batchElements=[(1, 0, 1, 0), (1, 1, 1, 0)] */
v_mul_f32 v[vgprValuC+14], s[sgprAlpha], v[vgprValuC+14] // *= alpha
v_mul_f32 v[vgprValuC+18], s[sgprAlpha], v[vgprValuC+18] // *= alpha
s_waitcnt vmcnt(0)                                 // wait C

/* apply mask, calc new C and issue writes */
_v_mac_f32 v[vgprValuC+14], v11, s[sgprBeta]       // finalSum = sum*alpha + C*beta
_global_store_b32 v[12:13], v14, off               // store D
_v_mac_f32 v[vgprValuC+18], v15, s[sgprBeta]       // finalSum = sum*alpha + C*beta
_global_store_b32 v[16:17], v18, off               // store D
s_nop 0                                            // 1 wait state required when next inst writes vgprs held by previous dwordx4 store inst
/* optSingleColVgpr=0 optSharedColVgpr=0 optSGPRUsage=None optSrdIncForRow=0 */

/******************************************/
/* Global Write Alpha Beta Batch #6 (d1,d0,vc1,vc0) = */
/*    (1,0,2,0:vw1); (1,1,2,0:vw1)        */
/******************************************/

/* calc coords, apply mask, and issue loads (if necessary) */
/* (d1,vc1,d0,vc0)=(1,2,0,0) */
_v_add_co_u32 v1, vcc, v1, 1                       // coord1.1: coord1Vgpr += d1*sg1*VW + vc1
GLOBAL_OFFSET_C 12, 0, 1, sgprWorkGroup2, 8
v_mov_b32 v8, v12                                  // temp store offset 0
v_mov_b32 v9, v13                                  // temp store offset 1
_v_add_co_u32 v12, vcc, v4, v8                     // addrVgpr = C + index*bytes (lo)
_v_addc_co_u32 v13, vcc, v5, v9, vcc               // addrVgpr = C + index*bytes (hi)
_global_load_b32 v11, v[12:13], off, offset:0      // load C for beta calc
GLOBAL_OFFSET_D 12, 0, 1, sgprWorkGroup2, 8
v_mov_b32 v8, v12                                  // temp store offset 0
v_mov_b32 v9, v13                                  // temp store offset 1
_v_add_co_u32 v12, vcc, v2, v8                     // addrVgpr = D + index*bytes (lo)
_v_addc_co_u32 v13, vcc, v3, v9, vcc               // addrVgpr = D + index*bytes (hi)
/* (d1,vc1,d0,vc0)=(1,2,1,0) */
_v_add_co_u32 v6, vcc, v0, 64                      // coord0.1: coord0 += d0*sg0*VW + vc0
GLOBAL_OFFSET_C 16, 6, 1, sgprWorkGroup2, 8
v_mov_b32 v8, v16                                  // temp store offset 0
v_mov_b32 v9, v17                                  // temp store offset 1
_v_add_co_u32 v16, vcc, v4, v8                     // addrVgpr = C + index*bytes (lo)
_v_addc_co_u32 v17, vcc, v5, v9, vcc               // addrVgpr = C + index*bytes (hi)
_global_load_b32 v15, v[16:17], off, offset:0      // load C for beta calc
GLOBAL_OFFSET_D 16, 6, 1, sgprWorkGroup2, 8
v_mov_b32 v8, v16                                  // temp store offset 0
v_mov_b32 v9, v17                                  // temp store offset 1
_v_add_co_u32 v16, vcc, v2, v8                     // addrVgpr = D + index*bytes (lo)
_v_addc_co_u32 v17, vcc, v3, v9, vcc               // addrVgpr = D + index*bytes (hi)
v_accvgpr_read_b32 v[vgprValuC+14], acc6 // copy acc to vreg[12]
v_accvgpr_read_b32 v[vgprValuC+18], acc22 // copy acc to vreg[13]
s_nop 1                                            // 2 wait states required before reading vgpr

/* rC *= alpha batchElements=[(1, 0, 2, 0), (1, 1, 2, 0)] */
v_mul_f32 v[vgprValuC+14], s[sgprAlpha], v[vgprValuC+14] // *= alpha
v_mul_f32 v[vgprValuC+18], s[sgprAlpha], v[vgprValuC+18] // *= alpha
s_waitcnt vmcnt(0)                                 // wait C

/* apply mask, calc new C and issue writes */
_v_mac_f32 v[vgprValuC+14], v11, s[sgprBeta]       // finalSum = sum*alpha + C*beta
_global_store_b32 v[12:13], v14, off               // store D
_v_mac_f32 v[vgprValuC+18], v15, s[sgprBeta]       // finalSum = sum*alpha + C*beta
_global_store_b32 v[16:17], v18, off               // store D
s_nop 0                                            // 1 wait state required when next inst writes vgprs held by previous dwordx4 store inst
/* optSingleColVgpr=0 optSharedColVgpr=0 optSGPRUsage=None optSrdIncForRow=0 */

/******************************************/
/* Global Write Alpha Beta Batch #7 (d1,d0,vc1,vc0) = */
/*    (1,0,3,0:vw1); (1,1,3,0:vw1)        */
/******************************************/

/* calc coords, apply mask, and issue loads (if necessary) */
/* (d1,vc1,d0,vc0)=(1,3,0,0) */
_v_add_co_u32 v1, vcc, v1, 1                       // coord1.1: coord1Vgpr += d1*sg1*VW + vc1
GLOBAL_OFFSET_C 12, 0, 1, sgprWorkGroup2, 8
v_mov_b32 v8, v12                                  // temp store offset 0
v_mov_b32 v9, v13                                  // temp store offset 1
_v_add_co_u32 v12, vcc, v4, v8                     // addrVgpr = C + index*bytes (lo)
_v_addc_co_u32 v13, vcc, v5, v9, vcc               // addrVgpr = C + index*bytes (hi)
_global_load_b32 v11, v[12:13], off, offset:0      // load C for beta calc
GLOBAL_OFFSET_D 12, 0, 1, sgprWorkGroup2, 8
v_mov_b32 v8, v12                                  // temp store offset 0
v_mov_b32 v9, v13                                  // temp store offset 1
_v_add_co_u32 v12, vcc, v2, v8                     // addrVgpr = D + index*bytes (lo)
_v_addc_co_u32 v13, vcc, v3, v9, vcc               // addrVgpr = D + index*bytes (hi)
/* (d1,vc1,d0,vc0)=(1,3,1,0) */
_v_add_co_u32 v6, vcc, v0, 64                      // coord0.1: coord0 += d0*sg0*VW + vc0
GLOBAL_OFFSET_C 16, 6, 1, sgprWorkGroup2, 8
v_mov_b32 v8, v16                                  // temp store offset 0
v_mov_b32 v9, v17                                  // temp store offset 1
_v_add_co_u32 v16, vcc, v4, v8                     // addrVgpr = C + index*bytes (lo)
_v_addc_co_u32 v17, vcc, v5, v9, vcc               // addrVgpr = C + index*bytes (hi)
_global_load_b32 v15, v[16:17], off, offset:0      // load C for beta calc
GLOBAL_OFFSET_D 16, 6, 1, sgprWorkGroup2, 8
v_mov_b32 v8, v16                                  // temp store offset 0
v_mov_b32 v9, v17                                  // temp store offset 1
_v_add_co_u32 v16, vcc, v2, v8                     // addrVgpr = D + index*bytes (lo)
_v_addc_co_u32 v17, vcc, v3, v9, vcc               // addrVgpr = D + index*bytes (hi)
v_accvgpr_read_b32 v[vgprValuC+14], acc7 // copy acc to vreg[14]
v_accvgpr_read_b32 v[vgprValuC+18], acc23 // copy acc to vreg[15]
s_nop 1                                            // 2 wait states required before reading vgpr

/* rC *= alpha batchElements=[(1, 0, 3, 0), (1, 1, 3, 0)] */
v_mul_f32 v[vgprValuC+14], s[sgprAlpha], v[vgprValuC+14] // *= alpha
v_mul_f32 v[vgprValuC+18], s[sgprAlpha], v[vgprValuC+18] // *= alpha
s_waitcnt vmcnt(0)                                 // wait C

/* apply mask, calc new C and issue writes */
_v_mac_f32 v[vgprValuC+14], v11, s[sgprBeta]       // finalSum = sum*alpha + C*beta
_global_store_b32 v[12:13], v14, off               // store D
_v_mac_f32 v[vgprValuC+18], v15, s[sgprBeta]       // finalSum = sum*alpha + C*beta
_global_store_b32 v[16:17], v18, off               // store D
s_nop 0                                            // 1 wait state required when next inst writes vgprs held by previous dwordx4 store inst
/* optSingleColVgpr=0 optSharedColVgpr=0 optSGPRUsage=None optSrdIncForRow=0 */

/******************************************/
/* Global Write Alpha Beta Batch #8 (d1,d0,vc1,vc0) = */
/*    (2,0,0,0:vw1); (2,1,0,0:vw1)        */
/******************************************/

/* calc coords, apply mask, and issue loads (if necessary) */
/* (d1,vc1,d0,vc0)=(2,0,0,0) */
_v_add_co_u32 v1, vcc, v1, 5                       // coord1.1: coord1Vgpr += d1*sg1*VW + vc1
GLOBAL_OFFSET_C 12, 0, 1, sgprWorkGroup2, 8
v_mov_b32 v8, v12                                  // temp store offset 0
v_mov_b32 v9, v13                                  // temp store offset 1
_v_add_co_u32 v12, vcc, v4, v8                     // addrVgpr = C + index*bytes (lo)
_v_addc_co_u32 v13, vcc, v5, v9, vcc               // addrVgpr = C + index*bytes (hi)
_global_load_b32 v11, v[12:13], off, offset:0      // load C for beta calc
GLOBAL_OFFSET_D 12, 0, 1, sgprWorkGroup2, 8
v_mov_b32 v8, v12                                  // temp store offset 0
v_mov_b32 v9, v13                                  // temp store offset 1
_v_add_co_u32 v12, vcc, v2, v8                     // addrVgpr = D + index*bytes (lo)
_v_addc_co_u32 v13, vcc, v3, v9, vcc               // addrVgpr = D + index*bytes (hi)
/* (d1,vc1,d0,vc0)=(2,0,1,0) */
_v_add_co_u32 v6, vcc, v0, 64                      // coord0.1: coord0 += d0*sg0*VW + vc0
GLOBAL_OFFSET_C 16, 6, 1, sgprWorkGroup2, 8
v_mov_b32 v8, v16                                  // temp store offset 0
v_mov_b32 v9, v17                                  // temp store offset 1
_v_add_co_u32 v16, vcc, v4, v8                     // addrVgpr = C + index*bytes (lo)
_v_addc_co_u32 v17, vcc, v5, v9, vcc               // addrVgpr = C + index*bytes (hi)
_global_load_b32 v15, v[16:17], off, offset:0      // load C for beta calc
GLOBAL_OFFSET_D 16, 6, 1, sgprWorkGroup2, 8
v_mov_b32 v8, v16                                  // temp store offset 0
v_mov_b32 v9, v17                                  // temp store offset 1
_v_add_co_u32 v16, vcc, v2, v8                     // addrVgpr = D + index*bytes (lo)
_v_addc_co_u32 v17, vcc, v3, v9, vcc               // addrVgpr = D + index*bytes (hi)
v_accvgpr_read_b32 v[vgprValuC+14], acc8 // copy acc to vreg[16]
v_accvgpr_read_b32 v[vgprValuC+18], acc24 // copy acc to vreg[17]
s_nop 1                                            // 2 wait states required before reading vgpr

/* rC *= alpha batchElements=[(2, 0, 0, 0), (2, 1, 0, 0)] */
v_mul_f32 v[vgprValuC+14], s[sgprAlpha], v[vgprValuC+14] // *= alpha
v_mul_f32 v[vgprValuC+18], s[sgprAlpha], v[vgprValuC+18] // *= alpha
s_waitcnt vmcnt(0)                                 // wait C

/* apply mask, calc new C and issue writes */
_v_mac_f32 v[vgprValuC+14], v11, s[sgprBeta]       // finalSum = sum*alpha + C*beta
_global_store_b32 v[12:13], v14, off               // store D
_v_mac_f32 v[vgprValuC+18], v15, s[sgprBeta]       // finalSum = sum*alpha + C*beta
_global_store_b32 v[16:17], v18, off               // store D
s_nop 0                                            // 1 wait state required when next inst writes vgprs held by previous dwordx4 store inst
/* optSingleColVgpr=0 optSharedColVgpr=0 optSGPRUsage=None optSrdIncForRow=0 */

/******************************************/
/* Global Write Alpha Beta Batch #9 (d1,d0,vc1,vc0) = */
/*    (2,0,1,0:vw1); (2,1,1,0:vw1)        */
/******************************************/

/* calc coords, apply mask, and issue loads (if necessary) */
/* (d1,vc1,d0,vc0)=(2,1,0,0) */
_v_add_co_u32 v1, vcc, v1, 1                       // coord1.1: coord1Vgpr += d1*sg1*VW + vc1
GLOBAL_OFFSET_C 12, 0, 1, sgprWorkGroup2, 8
v_mov_b32 v8, v12                                  // temp store offset 0
v_mov_b32 v9, v13                                  // temp store offset 1
_v_add_co_u32 v12, vcc, v4, v8                     // addrVgpr = C + index*bytes (lo)
_v_addc_co_u32 v13, vcc, v5, v9, vcc               // addrVgpr = C + index*bytes (hi)
_global_load_b32 v11, v[12:13], off, offset:0      // load C for beta calc
GLOBAL_OFFSET_D 12, 0, 1, sgprWorkGroup2, 8
v_mov_b32 v8, v12                                  // temp store offset 0
v_mov_b32 v9, v13                                  // temp store offset 1
_v_add_co_u32 v12, vcc, v2, v8                     // addrVgpr = D + index*bytes (lo)
_v_addc_co_u32 v13, vcc, v3, v9, vcc               // addrVgpr = D + index*bytes (hi)
/* (d1,vc1,d0,vc0)=(2,1,1,0) */
_v_add_co_u32 v6, vcc, v0, 64                      // coord0.1: coord0 += d0*sg0*VW + vc0
GLOBAL_OFFSET_C 16, 6, 1, sgprWorkGroup2, 8
v_mov_b32 v8, v16                                  // temp store offset 0
v_mov_b32 v9, v17                                  // temp store offset 1
_v_add_co_u32 v16, vcc, v4, v8                     // addrVgpr = C + index*bytes (lo)
_v_addc_co_u32 v17, vcc, v5, v9, vcc               // addrVgpr = C + index*bytes (hi)
_global_load_b32 v15, v[16:17], off, offset:0      // load C for beta calc
GLOBAL_OFFSET_D 16, 6, 1, sgprWorkGroup2, 8
v_mov_b32 v8, v16                                  // temp store offset 0
v_mov_b32 v9, v17                                  // temp store offset 1
_v_add_co_u32 v16, vcc, v2, v8                     // addrVgpr = D + index*bytes (lo)
_v_addc_co_u32 v17, vcc, v3, v9, vcc               // addrVgpr = D + index*bytes (hi)
v_accvgpr_read_b32 v[vgprValuC+14], acc9 // copy acc to vreg[18]
v_accvgpr_read_b32 v[vgprValuC+18], acc25 // copy acc to vreg[19]
s_nop 1                                            // 2 wait states required before reading vgpr

/* rC *= alpha batchElements=[(2, 0, 1, 0), (2, 1, 1, 0)] */
v_mul_f32 v[vgprValuC+14], s[sgprAlpha], v[vgprValuC+14] // *= alpha
v_mul_f32 v[vgprValuC+18], s[sgprAlpha], v[vgprValuC+18] // *= alpha
s_waitcnt vmcnt(0)                                 // wait C

/* apply mask, calc new C and issue writes */
_v_mac_f32 v[vgprValuC+14], v11, s[sgprBeta]       // finalSum = sum*alpha + C*beta
_global_store_b32 v[12:13], v14, off               // store D
_v_mac_f32 v[vgprValuC+18], v15, s[sgprBeta]       // finalSum = sum*alpha + C*beta
_global_store_b32 v[16:17], v18, off               // store D
s_nop 0                                            // 1 wait state required when next inst writes vgprs held by previous dwordx4 store inst
/* optSingleColVgpr=0 optSharedColVgpr=0 optSGPRUsage=None optSrdIncForRow=0 */

/******************************************/
/* Global Write Alpha Beta Batch #10 (d1,d0,vc1,vc0) = */
/*    (2,0,2,0:vw1); (2,1,2,0:vw1)        */
/******************************************/

/* calc coords, apply mask, and issue loads (if necessary) */
/* (d1,vc1,d0,vc0)=(2,2,0,0) */
_v_add_co_u32 v1, vcc, v1, 1                       // coord1.1: coord1Vgpr += d1*sg1*VW + vc1
GLOBAL_OFFSET_C 12, 0, 1, sgprWorkGroup2, 8
v_mov_b32 v8, v12                                  // temp store offset 0
v_mov_b32 v9, v13                                  // temp store offset 1
_v_add_co_u32 v12, vcc, v4, v8                     // addrVgpr = C + index*bytes (lo)
_v_addc_co_u32 v13, vcc, v5, v9, vcc               // addrVgpr = C + index*bytes (hi)
_global_load_b32 v11, v[12:13], off, offset:0      // load C for beta calc
GLOBAL_OFFSET_D 12, 0, 1, sgprWorkGroup2, 8
v_mov_b32 v8, v12                                  // temp store offset 0
v_mov_b32 v9, v13                                  // temp store offset 1
_v_add_co_u32 v12, vcc, v2, v8                     // addrVgpr = D + index*bytes (lo)
_v_addc_co_u32 v13, vcc, v3, v9, vcc               // addrVgpr = D + index*bytes (hi)
/* (d1,vc1,d0,vc0)=(2,2,1,0) */
_v_add_co_u32 v6, vcc, v0, 64                      // coord0.1: coord0 += d0*sg0*VW + vc0
GLOBAL_OFFSET_C 16, 6, 1, sgprWorkGroup2, 8
v_mov_b32 v8, v16                                  // temp store offset 0
v_mov_b32 v9, v17                                  // temp store offset 1
_v_add_co_u32 v16, vcc, v4, v8                     // addrVgpr = C + index*bytes (lo)
_v_addc_co_u32 v17, vcc, v5, v9, vcc               // addrVgpr = C + index*bytes (hi)
_global_load_b32 v15, v[16:17], off, offset:0      // load C for beta calc
GLOBAL_OFFSET_D 16, 6, 1, sgprWorkGroup2, 8
v_mov_b32 v8, v16                                  // temp store offset 0
v_mov_b32 v9, v17                                  // temp store offset 1
_v_add_co_u32 v16, vcc, v2, v8                     // addrVgpr = D + index*bytes (lo)
_v_addc_co_u32 v17, vcc, v3, v9, vcc               // addrVgpr = D + index*bytes (hi)
v_accvgpr_read_b32 v[vgprValuC+14], acc10 // copy acc to vreg[20]
v_accvgpr_read_b32 v[vgprValuC+18], acc26 // copy acc to vreg[21]
s_nop 1                                            // 2 wait states required before reading vgpr

/* rC *= alpha batchElements=[(2, 0, 2, 0), (2, 1, 2, 0)] */
v_mul_f32 v[vgprValuC+14], s[sgprAlpha], v[vgprValuC+14] // *= alpha
v_mul_f32 v[vgprValuC+18], s[sgprAlpha], v[vgprValuC+18] // *= alpha
s_waitcnt vmcnt(0)                                 // wait C

/* apply mask, calc new C and issue writes */
_v_mac_f32 v[vgprValuC+14], v11, s[sgprBeta]       // finalSum = sum*alpha + C*beta
_global_store_b32 v[12:13], v14, off               // store D
_v_mac_f32 v[vgprValuC+18], v15, s[sgprBeta]       // finalSum = sum*alpha + C*beta
_global_store_b32 v[16:17], v18, off               // store D
s_nop 0                                            // 1 wait state required when next inst writes vgprs held by previous dwordx4 store inst
/* optSingleColVgpr=0 optSharedColVgpr=0 optSGPRUsage=None optSrdIncForRow=0 */

/******************************************/
/* Global Write Alpha Beta Batch #11 (d1,d0,vc1,vc0) = */
/*    (2,0,3,0:vw1); (2,1,3,0:vw1)        */
/******************************************/

/* calc coords, apply mask, and issue loads (if necessary) */
/* (d1,vc1,d0,vc0)=(2,3,0,0) */
_v_add_co_u32 v1, vcc, v1, 1                       // coord1.1: coord1Vgpr += d1*sg1*VW + vc1
GLOBAL_OFFSET_C 12, 0, 1, sgprWorkGroup2, 8
v_mov_b32 v8, v12                                  // temp store offset 0
v_mov_b32 v9, v13                                  // temp store offset 1
_v_add_co_u32 v12, vcc, v4, v8                     // addrVgpr = C + index*bytes (lo)
_v_addc_co_u32 v13, vcc, v5, v9, vcc               // addrVgpr = C + index*bytes (hi)
_global_load_b32 v11, v[12:13], off, offset:0      // load C for beta calc
GLOBAL_OFFSET_D 12, 0, 1, sgprWorkGroup2, 8
v_mov_b32 v8, v12                                  // temp store offset 0
v_mov_b32 v9, v13                                  // temp store offset 1
_v_add_co_u32 v12, vcc, v2, v8                     // addrVgpr = D + index*bytes (lo)
_v_addc_co_u32 v13, vcc, v3, v9, vcc               // addrVgpr = D + index*bytes (hi)
/* (d1,vc1,d0,vc0)=(2,3,1,0) */
_v_add_co_u32 v6, vcc, v0, 64                      // coord0.1: coord0 += d0*sg0*VW + vc0
GLOBAL_OFFSET_C 16, 6, 1, sgprWorkGroup2, 8
v_mov_b32 v8, v16                                  // temp store offset 0
v_mov_b32 v9, v17                                  // temp store offset 1
_v_add_co_u32 v16, vcc, v4, v8                     // addrVgpr = C + index*bytes (lo)
_v_addc_co_u32 v17, vcc, v5, v9, vcc               // addrVgpr = C + index*bytes (hi)
_global_load_b32 v15, v[16:17], off, offset:0      // load C for beta calc
GLOBAL_OFFSET_D 16, 6, 1, sgprWorkGroup2, 8
v_mov_b32 v8, v16                                  // temp store offset 0
v_mov_b32 v9, v17                                  // temp store offset 1
_v_add_co_u32 v16, vcc, v2, v8                     // addrVgpr = D + index*bytes (lo)
_v_addc_co_u32 v17, vcc, v3, v9, vcc               // addrVgpr = D + index*bytes (hi)
v_accvgpr_read_b32 v[vgprValuC+14], acc11 // copy acc to vreg[22]
v_accvgpr_read_b32 v[vgprValuC+18], acc27 // copy acc to vreg[23]
s_nop 1                                            // 2 wait states required before reading vgpr

/* rC *= alpha batchElements=[(2, 0, 3, 0), (2, 1, 3, 0)] */
v_mul_f32 v[vgprValuC+14], s[sgprAlpha], v[vgprValuC+14] // *= alpha
v_mul_f32 v[vgprValuC+18], s[sgprAlpha], v[vgprValuC+18] // *= alpha
s_waitcnt vmcnt(0)                                 // wait C

/* apply mask, calc new C and issue writes */
_v_mac_f32 v[vgprValuC+14], v11, s[sgprBeta]       // finalSum = sum*alpha + C*beta
_global_store_b32 v[12:13], v14, off               // store D
_v_mac_f32 v[vgprValuC+18], v15, s[sgprBeta]       // finalSum = sum*alpha + C*beta
_global_store_b32 v[16:17], v18, off               // store D
s_nop 0                                            // 1 wait state required when next inst writes vgprs held by previous dwordx4 store inst
/* optSingleColVgpr=0 optSharedColVgpr=0 optSGPRUsage=None optSrdIncForRow=0 */

/******************************************/
/* Global Write Alpha Beta Batch #12 (d1,d0,vc1,vc0) = */
/*    (3,0,0,0:vw1); (3,1,0,0:vw1)        */
/******************************************/

/* calc coords, apply mask, and issue loads (if necessary) */
/* (d1,vc1,d0,vc0)=(3,0,0,0) */
_v_add_co_u32 v1, vcc, v1, 5                       // coord1.1: coord1Vgpr += d1*sg1*VW + vc1
GLOBAL_OFFSET_C 12, 0, 1, sgprWorkGroup2, 8
v_mov_b32 v8, v12                                  // temp store offset 0
v_mov_b32 v9, v13                                  // temp store offset 1
_v_add_co_u32 v12, vcc, v4, v8                     // addrVgpr = C + index*bytes (lo)
_v_addc_co_u32 v13, vcc, v5, v9, vcc               // addrVgpr = C + index*bytes (hi)
_global_load_b32 v11, v[12:13], off, offset:0      // load C for beta calc
GLOBAL_OFFSET_D 12, 0, 1, sgprWorkGroup2, 8
v_mov_b32 v8, v12                                  // temp store offset 0
v_mov_b32 v9, v13                                  // temp store offset 1
_v_add_co_u32 v12, vcc, v2, v8                     // addrVgpr = D + index*bytes (lo)
_v_addc_co_u32 v13, vcc, v3, v9, vcc               // addrVgpr = D + index*bytes (hi)
/* (d1,vc1,d0,vc0)=(3,0,1,0) */
_v_add_co_u32 v6, vcc, v0, 64                      // coord0.1: coord0 += d0*sg0*VW + vc0
GLOBAL_OFFSET_C 16, 6, 1, sgprWorkGroup2, 8
v_mov_b32 v8, v16                                  // temp store offset 0
v_mov_b32 v9, v17                                  // temp store offset 1
_v_add_co_u32 v16, vcc, v4, v8                     // addrVgpr = C + index*bytes (lo)
_v_addc_co_u32 v17, vcc, v5, v9, vcc               // addrVgpr = C + index*bytes (hi)
_global_load_b32 v15, v[16:17], off, offset:0      // load C for beta calc
GLOBAL_OFFSET_D 16, 6, 1, sgprWorkGroup2, 8
v_mov_b32 v8, v16                                  // temp store offset 0
v_mov_b32 v9, v17                                  // temp store offset 1
_v_add_co_u32 v16, vcc, v2, v8                     // addrVgpr = D + index*bytes (lo)
_v_addc_co_u32 v17, vcc, v3, v9, vcc               // addrVgpr = D + index*bytes (hi)
v_accvgpr_read_b32 v[vgprValuC+14], acc12 // copy acc to vreg[24]
v_accvgpr_read_b32 v[vgprValuC+18], acc28 // copy acc to vreg[25]
s_nop 1                                            // 2 wait states required before reading vgpr

/* rC *= alpha batchElements=[(3, 0, 0, 0), (3, 1, 0, 0)] */
v_mul_f32 v[vgprValuC+14], s[sgprAlpha], v[vgprValuC+14] // *= alpha
v_mul_f32 v[vgprValuC+18], s[sgprAlpha], v[vgprValuC+18] // *= alpha
s_waitcnt vmcnt(0)                                 // wait C

/* apply mask, calc new C and issue writes */
_v_mac_f32 v[vgprValuC+14], v11, s[sgprBeta]       // finalSum = sum*alpha + C*beta
_global_store_b32 v[12:13], v14, off               // store D
_v_mac_f32 v[vgprValuC+18], v15, s[sgprBeta]       // finalSum = sum*alpha + C*beta
_global_store_b32 v[16:17], v18, off               // store D
s_nop 0                                            // 1 wait state required when next inst writes vgprs held by previous dwordx4 store inst
/* optSingleColVgpr=0 optSharedColVgpr=0 optSGPRUsage=None optSrdIncForRow=0 */

/******************************************/
/* Global Write Alpha Beta Batch #13 (d1,d0,vc1,vc0) = */
/*    (3,0,1,0:vw1); (3,1,1,0:vw1)        */
/******************************************/

/* calc coords, apply mask, and issue loads (if necessary) */
/* (d1,vc1,d0,vc0)=(3,1,0,0) */
_v_add_co_u32 v1, vcc, v1, 1                       // coord1.1: coord1Vgpr += d1*sg1*VW + vc1
GLOBAL_OFFSET_C 12, 0, 1, sgprWorkGroup2, 8
v_mov_b32 v8, v12                                  // temp store offset 0
v_mov_b32 v9, v13                                  // temp store offset 1
_v_add_co_u32 v12, vcc, v4, v8                     // addrVgpr = C + index*bytes (lo)
_v_addc_co_u32 v13, vcc, v5, v9, vcc               // addrVgpr = C + index*bytes (hi)
_global_load_b32 v11, v[12:13], off, offset:0      // load C for beta calc
GLOBAL_OFFSET_D 12, 0, 1, sgprWorkGroup2, 8
v_mov_b32 v8, v12                                  // temp store offset 0
v_mov_b32 v9, v13                                  // temp store offset 1
_v_add_co_u32 v12, vcc, v2, v8                     // addrVgpr = D + index*bytes (lo)
_v_addc_co_u32 v13, vcc, v3, v9, vcc               // addrVgpr = D + index*bytes (hi)
/* (d1,vc1,d0,vc0)=(3,1,1,0) */
_v_add_co_u32 v6, vcc, v0, 64                      // coord0.1: coord0 += d0*sg0*VW + vc0
GLOBAL_OFFSET_C 16, 6, 1, sgprWorkGroup2, 8
v_mov_b32 v8, v16                                  // temp store offset 0
v_mov_b32 v9, v17                                  // temp store offset 1
_v_add_co_u32 v16, vcc, v4, v8                     // addrVgpr = C + index*bytes (lo)
_v_addc_co_u32 v17, vcc, v5, v9, vcc               // addrVgpr = C + index*bytes (hi)
_global_load_b32 v15, v[16:17], off, offset:0      // load C for beta calc
GLOBAL_OFFSET_D 16, 6, 1, sgprWorkGroup2, 8
v_mov_b32 v8, v16                                  // temp store offset 0
v_mov_b32 v9, v17                                  // temp store offset 1
_v_add_co_u32 v16, vcc, v2, v8                     // addrVgpr = D + index*bytes (lo)
_v_addc_co_u32 v17, vcc, v3, v9, vcc               // addrVgpr = D + index*bytes (hi)
v_accvgpr_read_b32 v[vgprValuC+14], acc13 // copy acc to vreg[26]
v_accvgpr_read_b32 v[vgprValuC+18], acc29 // copy acc to vreg[27]
s_nop 1                                            // 2 wait states required before reading vgpr

/* rC *= alpha batchElements=[(3, 0, 1, 0), (3, 1, 1, 0)] */
v_mul_f32 v[vgprValuC+14], s[sgprAlpha], v[vgprValuC+14] // *= alpha
v_mul_f32 v[vgprValuC+18], s[sgprAlpha], v[vgprValuC+18] // *= alpha
s_waitcnt vmcnt(0)                                 // wait C

/* apply mask, calc new C and issue writes */
_v_mac_f32 v[vgprValuC+14], v11, s[sgprBeta]       // finalSum = sum*alpha + C*beta
_global_store_b32 v[12:13], v14, off               // store D
_v_mac_f32 v[vgprValuC+18], v15, s[sgprBeta]       // finalSum = sum*alpha + C*beta
_global_store_b32 v[16:17], v18, off               // store D
s_nop 0                                            // 1 wait state required when next inst writes vgprs held by previous dwordx4 store inst
/* optSingleColVgpr=0 optSharedColVgpr=0 optSGPRUsage=None optSrdIncForRow=0 */

/******************************************/
/* Global Write Alpha Beta Batch #14 (d1,d0,vc1,vc0) = */
/*    (3,0,2,0:vw1); (3,1,2,0:vw1)        */
/******************************************/

/* calc coords, apply mask, and issue loads (if necessary) */
/* (d1,vc1,d0,vc0)=(3,2,0,0) */
_v_add_co_u32 v1, vcc, v1, 1                       // coord1.1: coord1Vgpr += d1*sg1*VW + vc1
GLOBAL_OFFSET_C 12, 0, 1, sgprWorkGroup2, 8
v_mov_b32 v8, v12                                  // temp store offset 0
v_mov_b32 v9, v13                                  // temp store offset 1
_v_add_co_u32 v12, vcc, v4, v8                     // addrVgpr = C + index*bytes (lo)
_v_addc_co_u32 v13, vcc, v5, v9, vcc               // addrVgpr = C + index*bytes (hi)
_global_load_b32 v11, v[12:13], off, offset:0      // load C for beta calc
GLOBAL_OFFSET_D 12, 0, 1, sgprWorkGroup2, 8
v_mov_b32 v8, v12                                  // temp store offset 0
v_mov_b32 v9, v13                                  // temp store offset 1
_v_add_co_u32 v12, vcc, v2, v8                     // addrVgpr = D + index*bytes (lo)
_v_addc_co_u32 v13, vcc, v3, v9, vcc               // addrVgpr = D + index*bytes (hi)
/* (d1,vc1,d0,vc0)=(3,2,1,0) */
_v_add_co_u32 v6, vcc, v0, 64                      // coord0.1: coord0 += d0*sg0*VW + vc0
GLOBAL_OFFSET_C 16, 6, 1, sgprWorkGroup2, 8
v_mov_b32 v8, v16                                  // temp store offset 0
v_mov_b32 v9, v17                                  // temp store offset 1
_v_add_co_u32 v16, vcc, v4, v8                     // addrVgpr = C + index*bytes (lo)
_v_addc_co_u32 v17, vcc, v5, v9, vcc               // addrVgpr = C + index*bytes (hi)
_global_load_b32 v15, v[16:17], off, offset:0      // load C for beta calc
GLOBAL_OFFSET_D 16, 6, 1, sgprWorkGroup2, 8
v_mov_b32 v8, v16                                  // temp store offset 0
v_mov_b32 v9, v17                                  // temp store offset 1
_v_add_co_u32 v16, vcc, v2, v8                     // addrVgpr = D + index*bytes (lo)
_v_addc_co_u32 v17, vcc, v3, v9, vcc               // addrVgpr = D + index*bytes (hi)
v_accvgpr_read_b32 v[vgprValuC+14], acc14 // copy acc to vreg[28]
v_accvgpr_read_b32 v[vgprValuC+18], acc30 // copy acc to vreg[29]
s_nop 1                                            // 2 wait states required before reading vgpr

/* rC *= alpha batchElements=[(3, 0, 2, 0), (3, 1, 2, 0)] */
v_mul_f32 v[vgprValuC+14], s[sgprAlpha], v[vgprValuC+14] // *= alpha
v_mul_f32 v[vgprValuC+18], s[sgprAlpha], v[vgprValuC+18] // *= alpha
s_waitcnt vmcnt(0)                                 // wait C

/* apply mask, calc new C and issue writes */
_v_mac_f32 v[vgprValuC+14], v11, s[sgprBeta]       // finalSum = sum*alpha + C*beta
_global_store_b32 v[12:13], v14, off               // store D
_v_mac_f32 v[vgprValuC+18], v15, s[sgprBeta]       // finalSum = sum*alpha + C*beta
_global_store_b32 v[16:17], v18, off               // store D
s_nop 0                                            // 1 wait state required when next inst writes vgprs held by previous dwordx4 store inst
/* optSingleColVgpr=0 optSharedColVgpr=0 optSGPRUsage=None optSrdIncForRow=0 */

/******************************************/
/* Global Write Alpha Beta Batch #15 (d1,d0,vc1,vc0) = */
/*    (3,0,3,0:vw1); (3,1,3,0:vw1)        */
/******************************************/

/* calc coords, apply mask, and issue loads (if necessary) */
/* (d1,vc1,d0,vc0)=(3,3,0,0) */
_v_add_co_u32 v1, vcc, v1, 1                       // coord1.1: coord1Vgpr += d1*sg1*VW + vc1
GLOBAL_OFFSET_C 12, 0, 1, sgprWorkGroup2, 8
v_mov_b32 v8, v12                                  // temp store offset 0
v_mov_b32 v9, v13                                  // temp store offset 1
_v_add_co_u32 v12, vcc, v4, v8                     // addrVgpr = C + index*bytes (lo)
_v_addc_co_u32 v13, vcc, v5, v9, vcc               // addrVgpr = C + index*bytes (hi)
_global_load_b32 v11, v[12:13], off, offset:0      // load C for beta calc
GLOBAL_OFFSET_D 12, 0, 1, sgprWorkGroup2, 8
v_mov_b32 v8, v12                                  // temp store offset 0
v_mov_b32 v9, v13                                  // temp store offset 1
_v_add_co_u32 v12, vcc, v2, v8                     // addrVgpr = D + index*bytes (lo)
_v_addc_co_u32 v13, vcc, v3, v9, vcc               // addrVgpr = D + index*bytes (hi)
/* (d1,vc1,d0,vc0)=(3,3,1,0) */
_v_add_co_u32 v6, vcc, v0, 64                      // coord0.1: coord0 += d0*sg0*VW + vc0
GLOBAL_OFFSET_C 16, 6, 1, sgprWorkGroup2, 8
v_mov_b32 v8, v16                                  // temp store offset 0
v_mov_b32 v9, v17                                  // temp store offset 1
_v_add_co_u32 v16, vcc, v4, v8                     // addrVgpr = C + index*bytes (lo)
_v_addc_co_u32 v17, vcc, v5, v9, vcc               // addrVgpr = C + index*bytes (hi)
_global_load_b32 v15, v[16:17], off, offset:0      // load C for beta calc
GLOBAL_OFFSET_D 16, 6, 1, sgprWorkGroup2, 8
v_mov_b32 v8, v16                                  // temp store offset 0
v_mov_b32 v9, v17                                  // temp store offset 1
_v_add_co_u32 v16, vcc, v2, v8                     // addrVgpr = D + index*bytes (lo)
_v_addc_co_u32 v17, vcc, v3, v9, vcc               // addrVgpr = D + index*bytes (hi)
v_accvgpr_read_b32 v[vgprValuC+14], acc15 // copy acc to vreg[30]
v_accvgpr_read_b32 v[vgprValuC+18], acc31 // copy acc to vreg[31]
s_nop 1                                            // 2 wait states required before reading vgpr

/* rC *= alpha batchElements=[(3, 0, 3, 0), (3, 1, 3, 0)] */
v_mul_f32 v[vgprValuC+14], s[sgprAlpha], v[vgprValuC+14] // *= alpha
v_mul_f32 v[vgprValuC+18], s[sgprAlpha], v[vgprValuC+18] // *= alpha
s_waitcnt vmcnt(0)                                 // wait C

/* apply mask, calc new C and issue writes */
_v_mac_f32 v[vgprValuC+14], v11, s[sgprBeta]       // finalSum = sum*alpha + C*beta
_global_store_b32 v[12:13], v14, off               // store D
_v_mac_f32 v[vgprValuC+18], v15, s[sgprBeta]       // finalSum = sum*alpha + C*beta
_global_store_b32 v[16:17], v18, off               // store D
s_nop 0                                            // 1 wait state required when next inst writes vgprs held by previous dwordx4 store inst
/* optSingleColVgpr=0 optSharedColVgpr=0 optSGPRUsage=None optSrdIncForRow=0 */

/******************************************/
/* Global Write Alpha Beta Batch #16 (d1,d0,vc1,vc0) = */
/*    (4,0,0,0:vw1); (4,1,0,0:vw1)        */
/******************************************/

/* calc coords, apply mask, and issue loads (if necessary) */
/* (d1,vc1,d0,vc0)=(4,0,0,0) */
_v_add_co_u32 v1, vcc, v1, 37                      // coord1.1: coord1Vgpr += d1*sg1*VW + vc1
GLOBAL_OFFSET_C 12, 0, 1, sgprWorkGroup2, 8
v_mov_b32 v8, v12                                  // temp store offset 0
v_mov_b32 v9, v13                                  // temp store offset 1
_v_add_co_u32 v12, vcc, v4, v8                     // addrVgpr = C + index*bytes (lo)
_v_addc_co_u32 v13, vcc, v5, v9, vcc               // addrVgpr = C + index*bytes (hi)
_global_load_b32 v11, v[12:13], off, offset:0      // load C for beta calc
GLOBAL_OFFSET_D 12, 0, 1, sgprWorkGroup2, 8
v_mov_b32 v8, v12                                  // temp store offset 0
v_mov_b32 v9, v13                                  // temp store offset 1
_v_add_co_u32 v12, vcc, v2, v8                     // addrVgpr = D + index*bytes (lo)
_v_addc_co_u32 v13, vcc, v3, v9, vcc               // addrVgpr = D + index*bytes (hi)
/* (d1,vc1,d0,vc0)=(4,0,1,0) */
_v_add_co_u32 v6, vcc, v0, 64                      // coord0.1: coord0 += d0*sg0*VW + vc0
GLOBAL_OFFSET_C 16, 6, 1, sgprWorkGroup2, 8
v_mov_b32 v8, v16                                  // temp store offset 0
v_mov_b32 v9, v17                                  // temp store offset 1
_v_add_co_u32 v16, vcc, v4, v8                     // addrVgpr = C + index*bytes (lo)
_v_addc_co_u32 v17, vcc, v5, v9, vcc               // addrVgpr = C + index*bytes (hi)
_global_load_b32 v15, v[16:17], off, offset:0      // load C for beta calc
GLOBAL_OFFSET_D 16, 6, 1, sgprWorkGroup2, 8
v_mov_b32 v8, v16                                  // temp store offset 0
v_mov_b32 v9, v17                                  // temp store offset 1
_v_add_co_u32 v16, vcc, v2, v8                     // addrVgpr = D + index*bytes (lo)
_v_addc_co_u32 v17, vcc, v3, v9, vcc               // addrVgpr = D + index*bytes (hi)
v_accvgpr_read_b32 v[vgprValuC+14], acc32 // copy acc to vreg[32]
v_accvgpr_read_b32 v[vgprValuC+18], acc48 // copy acc to vreg[33]
s_nop 1                                            // 2 wait states required before reading vgpr

/* rC *= alpha batchElements=[(4, 0, 0, 0), (4, 1, 0, 0)] */
v_mul_f32 v[vgprValuC+14], s[sgprAlpha], v[vgprValuC+14] // *= alpha
v_mul_f32 v[vgprValuC+18], s[sgprAlpha], v[vgprValuC+18] // *= alpha
s_waitcnt vmcnt(0)                                 // wait C

/* apply mask, calc new C and issue writes */
_v_mac_f32 v[vgprValuC+14], v11, s[sgprBeta]       // finalSum = sum*alpha + C*beta
_global_store_b32 v[12:13], v14, off               // store D
_v_mac_f32 v[vgprValuC+18], v15, s[sgprBeta]       // finalSum = sum*alpha + C*beta
_global_store_b32 v[16:17], v18, off               // store D
s_nop 0                                            // 1 wait state required when next inst writes vgprs held by previous dwordx4 store inst
/* optSingleColVgpr=0 optSharedColVgpr=0 optSGPRUsage=None optSrdIncForRow=0 */

/******************************************/
/* Global Write Alpha Beta Batch #17 (d1,d0,vc1,vc0) = */
/*    (4,0,1,0:vw1); (4,1,1,0:vw1)        */
/******************************************/

/* calc coords, apply mask, and issue loads (if necessary) */
/* (d1,vc1,d0,vc0)=(4,1,0,0) */
_v_add_co_u32 v1, vcc, v1, 1                       // coord1.1: coord1Vgpr += d1*sg1*VW + vc1
GLOBAL_OFFSET_C 12, 0, 1, sgprWorkGroup2, 8
v_mov_b32 v8, v12                                  // temp store offset 0
v_mov_b32 v9, v13                                  // temp store offset 1
_v_add_co_u32 v12, vcc, v4, v8                     // addrVgpr = C + index*bytes (lo)
_v_addc_co_u32 v13, vcc, v5, v9, vcc               // addrVgpr = C + index*bytes (hi)
_global_load_b32 v11, v[12:13], off, offset:0      // load C for beta calc
GLOBAL_OFFSET_D 12, 0, 1, sgprWorkGroup2, 8
v_mov_b32 v8, v12                                  // temp store offset 0
v_mov_b32 v9, v13                                  // temp store offset 1
_v_add_co_u32 v12, vcc, v2, v8                     // addrVgpr = D + index*bytes (lo)
_v_addc_co_u32 v13, vcc, v3, v9, vcc               // addrVgpr = D + index*bytes (hi)
/* (d1,vc1,d0,vc0)=(4,1,1,0) */
_v_add_co_u32 v6, vcc, v0, 64                      // coord0.1: coord0 += d0*sg0*VW + vc0
GLOBAL_OFFSET_C 16, 6, 1, sgprWorkGroup2, 8
v_mov_b32 v8, v16                                  // temp store offset 0
v_mov_b32 v9, v17                                  // temp store offset 1
_v_add_co_u32 v16, vcc, v4, v8                     // addrVgpr = C + index*bytes (lo)
_v_addc_co_u32 v17, vcc, v5, v9, vcc               // addrVgpr = C + index*bytes (hi)
_global_load_b32 v15, v[16:17], off, offset:0      // load C for beta calc
GLOBAL_OFFSET_D 16, 6, 1, sgprWorkGroup2, 8
v_mov_b32 v8, v16                                  // temp store offset 0
v_mov_b32 v9, v17                                  // temp store offset 1
_v_add_co_u32 v16, vcc, v2, v8                     // addrVgpr = D + index*bytes (lo)
_v_addc_co_u32 v17, vcc, v3, v9, vcc               // addrVgpr = D + index*bytes (hi)
v_accvgpr_read_b32 v[vgprValuC+14], acc33 // copy acc to vreg[34]
v_accvgpr_read_b32 v[vgprValuC+18], acc49 // copy acc to vreg[35]
s_nop 1                                            // 2 wait states required before reading vgpr

/* rC *= alpha batchElements=[(4, 0, 1, 0), (4, 1, 1, 0)] */
v_mul_f32 v[vgprValuC+14], s[sgprAlpha], v[vgprValuC+14] // *= alpha
v_mul_f32 v[vgprValuC+18], s[sgprAlpha], v[vgprValuC+18] // *= alpha
s_waitcnt vmcnt(0)                                 // wait C

/* apply mask, calc new C and issue writes */
_v_mac_f32 v[vgprValuC+14], v11, s[sgprBeta]       // finalSum = sum*alpha + C*beta
_global_store_b32 v[12:13], v14, off               // store D
_v_mac_f32 v[vgprValuC+18], v15, s[sgprBeta]       // finalSum = sum*alpha + C*beta
_global_store_b32 v[16:17], v18, off               // store D
s_nop 0                                            // 1 wait state required when next inst writes vgprs held by previous dwordx4 store inst
/* optSingleColVgpr=0 optSharedColVgpr=0 optSGPRUsage=None optSrdIncForRow=0 */

/******************************************/
/* Global Write Alpha Beta Batch #18 (d1,d0,vc1,vc0) = */
/*    (4,0,2,0:vw1); (4,1,2,0:vw1)        */
/******************************************/

/* calc coords, apply mask, and issue loads (if necessary) */
/* (d1,vc1,d0,vc0)=(4,2,0,0) */
_v_add_co_u32 v1, vcc, v1, 1                       // coord1.1: coord1Vgpr += d1*sg1*VW + vc1
GLOBAL_OFFSET_C 12, 0, 1, sgprWorkGroup2, 8
v_mov_b32 v8, v12                                  // temp store offset 0
v_mov_b32 v9, v13                                  // temp store offset 1
_v_add_co_u32 v12, vcc, v4, v8                     // addrVgpr = C + index*bytes (lo)
_v_addc_co_u32 v13, vcc, v5, v9, vcc               // addrVgpr = C + index*bytes (hi)
_global_load_b32 v11, v[12:13], off, offset:0      // load C for beta calc
GLOBAL_OFFSET_D 12, 0, 1, sgprWorkGroup2, 8
v_mov_b32 v8, v12                                  // temp store offset 0
v_mov_b32 v9, v13                                  // temp store offset 1
_v_add_co_u32 v12, vcc, v2, v8                     // addrVgpr = D + index*bytes (lo)
_v_addc_co_u32 v13, vcc, v3, v9, vcc               // addrVgpr = D + index*bytes (hi)
/* (d1,vc1,d0,vc0)=(4,2,1,0) */
_v_add_co_u32 v6, vcc, v0, 64                      // coord0.1: coord0 += d0*sg0*VW + vc0
GLOBAL_OFFSET_C 16, 6, 1, sgprWorkGroup2, 8
v_mov_b32 v8, v16                                  // temp store offset 0
v_mov_b32 v9, v17                                  // temp store offset 1
_v_add_co_u32 v16, vcc, v4, v8                     // addrVgpr = C + index*bytes (lo)
_v_addc_co_u32 v17, vcc, v5, v9, vcc               // addrVgpr = C + index*bytes (hi)
_global_load_b32 v15, v[16:17], off, offset:0      // load C for beta calc
GLOBAL_OFFSET_D 16, 6, 1, sgprWorkGroup2, 8
v_mov_b32 v8, v16                                  // temp store offset 0
v_mov_b32 v9, v17                                  // temp store offset 1
_v_add_co_u32 v16, vcc, v2, v8                     // addrVgpr = D + index*bytes (lo)
_v_addc_co_u32 v17, vcc, v3, v9, vcc               // addrVgpr = D + index*bytes (hi)
v_accvgpr_read_b32 v[vgprValuC+14], acc34 // copy acc to vreg[36]
v_accvgpr_read_b32 v[vgprValuC+18], acc50 // copy acc to vreg[37]
s_nop 1                                            // 2 wait states required before reading vgpr

/* rC *= alpha batchElements=[(4, 0, 2, 0), (4, 1, 2, 0)] */
v_mul_f32 v[vgprValuC+14], s[sgprAlpha], v[vgprValuC+14] // *= alpha
v_mul_f32 v[vgprValuC+18], s[sgprAlpha], v[vgprValuC+18] // *= alpha
s_waitcnt vmcnt(0)                                 // wait C

/* apply mask, calc new C and issue writes */
_v_mac_f32 v[vgprValuC+14], v11, s[sgprBeta]       // finalSum = sum*alpha + C*beta
_global_store_b32 v[12:13], v14, off               // store D
_v_mac_f32 v[vgprValuC+18], v15, s[sgprBeta]       // finalSum = sum*alpha + C*beta
_global_store_b32 v[16:17], v18, off               // store D
s_nop 0                                            // 1 wait state required when next inst writes vgprs held by previous dwordx4 store inst
/* optSingleColVgpr=0 optSharedColVgpr=0 optSGPRUsage=None optSrdIncForRow=0 */

/******************************************/
/* Global Write Alpha Beta Batch #19 (d1,d0,vc1,vc0) = */
/*    (4,0,3,0:vw1); (4,1,3,0:vw1)        */
/******************************************/

/* calc coords, apply mask, and issue loads (if necessary) */
/* (d1,vc1,d0,vc0)=(4,3,0,0) */
_v_add_co_u32 v1, vcc, v1, 1                       // coord1.1: coord1Vgpr += d1*sg1*VW + vc1
GLOBAL_OFFSET_C 12, 0, 1, sgprWorkGroup2, 8
v_mov_b32 v8, v12                                  // temp store offset 0
v_mov_b32 v9, v13                                  // temp store offset 1
_v_add_co_u32 v12, vcc, v4, v8                     // addrVgpr = C + index*bytes (lo)
_v_addc_co_u32 v13, vcc, v5, v9, vcc               // addrVgpr = C + index*bytes (hi)
_global_load_b32 v11, v[12:13], off, offset:0      // load C for beta calc
GLOBAL_OFFSET_D 12, 0, 1, sgprWorkGroup2, 8
v_mov_b32 v8, v12                                  // temp store offset 0
v_mov_b32 v9, v13                                  // temp store offset 1
_v_add_co_u32 v12, vcc, v2, v8                     // addrVgpr = D + index*bytes (lo)
_v_addc_co_u32 v13, vcc, v3, v9, vcc               // addrVgpr = D + index*bytes (hi)
/* (d1,vc1,d0,vc0)=(4,3,1,0) */
_v_add_co_u32 v6, vcc, v0, 64                      // coord0.1: coord0 += d0*sg0*VW + vc0
GLOBAL_OFFSET_C 16, 6, 1, sgprWorkGroup2, 8
v_mov_b32 v8, v16                                  // temp store offset 0
v_mov_b32 v9, v17                                  // temp store offset 1
_v_add_co_u32 v16, vcc, v4, v8                     // addrVgpr = C + index*bytes (lo)
_v_addc_co_u32 v17, vcc, v5, v9, vcc               // addrVgpr = C + index*bytes (hi)
_global_load_b32 v15, v[16:17], off, offset:0      // load C for beta calc
GLOBAL_OFFSET_D 16, 6, 1, sgprWorkGroup2, 8
v_mov_b32 v8, v16                                  // temp store offset 0
v_mov_b32 v9, v17                                  // temp store offset 1
_v_add_co_u32 v16, vcc, v2, v8                     // addrVgpr = D + index*bytes (lo)
_v_addc_co_u32 v17, vcc, v3, v9, vcc               // addrVgpr = D + index*bytes (hi)
v_accvgpr_read_b32 v[vgprValuC+14], acc35 // copy acc to vreg[38]
v_accvgpr_read_b32 v[vgprValuC+18], acc51 // copy acc to vreg[39]
s_nop 1                                            // 2 wait states required before reading vgpr

/* rC *= alpha batchElements=[(4, 0, 3, 0), (4, 1, 3, 0)] */
v_mul_f32 v[vgprValuC+14], s[sgprAlpha], v[vgprValuC+14] // *= alpha
v_mul_f32 v[vgprValuC+18], s[sgprAlpha], v[vgprValuC+18] // *= alpha
s_waitcnt vmcnt(0)                                 // wait C

/* apply mask, calc new C and issue writes */
_v_mac_f32 v[vgprValuC+14], v11, s[sgprBeta]       // finalSum = sum*alpha + C*beta
_global_store_b32 v[12:13], v14, off               // store D
_v_mac_f32 v[vgprValuC+18], v15, s[sgprBeta]       // finalSum = sum*alpha + C*beta
_global_store_b32 v[16:17], v18, off               // store D
s_nop 0                                            // 1 wait state required when next inst writes vgprs held by previous dwordx4 store inst
/* optSingleColVgpr=0 optSharedColVgpr=0 optSGPRUsage=None optSrdIncForRow=0 */

/******************************************/
/* Global Write Alpha Beta Batch #20 (d1,d0,vc1,vc0) = */
/*    (5,0,0,0:vw1); (5,1,0,0:vw1)        */
/******************************************/

/* calc coords, apply mask, and issue loads (if necessary) */
/* (d1,vc1,d0,vc0)=(5,0,0,0) */
_v_add_co_u32 v1, vcc, v1, 5                       // coord1.1: coord1Vgpr += d1*sg1*VW + vc1
GLOBAL_OFFSET_C 12, 0, 1, sgprWorkGroup2, 8
v_mov_b32 v8, v12                                  // temp store offset 0
v_mov_b32 v9, v13                                  // temp store offset 1
_v_add_co_u32 v12, vcc, v4, v8                     // addrVgpr = C + index*bytes (lo)
_v_addc_co_u32 v13, vcc, v5, v9, vcc               // addrVgpr = C + index*bytes (hi)
_global_load_b32 v11, v[12:13], off, offset:0      // load C for beta calc
GLOBAL_OFFSET_D 12, 0, 1, sgprWorkGroup2, 8
v_mov_b32 v8, v12                                  // temp store offset 0
v_mov_b32 v9, v13                                  // temp store offset 1
_v_add_co_u32 v12, vcc, v2, v8                     // addrVgpr = D + index*bytes (lo)
_v_addc_co_u32 v13, vcc, v3, v9, vcc               // addrVgpr = D + index*bytes (hi)
/* (d1,vc1,d0,vc0)=(5,0,1,0) */
_v_add_co_u32 v6, vcc, v0, 64                      // coord0.1: coord0 += d0*sg0*VW + vc0
GLOBAL_OFFSET_C 16, 6, 1, sgprWorkGroup2, 8
v_mov_b32 v8, v16                                  // temp store offset 0
v_mov_b32 v9, v17                                  // temp store offset 1
_v_add_co_u32 v16, vcc, v4, v8                     // addrVgpr = C + index*bytes (lo)
_v_addc_co_u32 v17, vcc, v5, v9, vcc               // addrVgpr = C + index*bytes (hi)
_global_load_b32 v15, v[16:17], off, offset:0      // load C for beta calc
GLOBAL_OFFSET_D 16, 6, 1, sgprWorkGroup2, 8
v_mov_b32 v8, v16                                  // temp store offset 0
v_mov_b32 v9, v17                                  // temp store offset 1
_v_add_co_u32 v16, vcc, v2, v8                     // addrVgpr = D + index*bytes (lo)
_v_addc_co_u32 v17, vcc, v3, v9, vcc               // addrVgpr = D + index*bytes (hi)
v_accvgpr_read_b32 v[vgprValuC+14], acc36 // copy acc to vreg[40]
v_accvgpr_read_b32 v[vgprValuC+18], acc52 // copy acc to vreg[41]
s_nop 1                                            // 2 wait states required before reading vgpr

/* rC *= alpha batchElements=[(5, 0, 0, 0), (5, 1, 0, 0)] */
v_mul_f32 v[vgprValuC+14], s[sgprAlpha], v[vgprValuC+14] // *= alpha
v_mul_f32 v[vgprValuC+18], s[sgprAlpha], v[vgprValuC+18] // *= alpha
s_waitcnt vmcnt(0)                                 // wait C

/* apply mask, calc new C and issue writes */
_v_mac_f32 v[vgprValuC+14], v11, s[sgprBeta]       // finalSum = sum*alpha + C*beta
_global_store_b32 v[12:13], v14, off               // store D
_v_mac_f32 v[vgprValuC+18], v15, s[sgprBeta]       // finalSum = sum*alpha + C*beta
_global_store_b32 v[16:17], v18, off               // store D
s_nop 0                                            // 1 wait state required when next inst writes vgprs held by previous dwordx4 store inst
/* optSingleColVgpr=0 optSharedColVgpr=0 optSGPRUsage=None optSrdIncForRow=0 */

/******************************************/
/* Global Write Alpha Beta Batch #21 (d1,d0,vc1,vc0) = */
/*    (5,0,1,0:vw1); (5,1,1,0:vw1)        */
/******************************************/

/* calc coords, apply mask, and issue loads (if necessary) */
/* (d1,vc1,d0,vc0)=(5,1,0,0) */
_v_add_co_u32 v1, vcc, v1, 1                       // coord1.1: coord1Vgpr += d1*sg1*VW + vc1
GLOBAL_OFFSET_C 12, 0, 1, sgprWorkGroup2, 8
v_mov_b32 v8, v12                                  // temp store offset 0
v_mov_b32 v9, v13                                  // temp store offset 1
_v_add_co_u32 v12, vcc, v4, v8                     // addrVgpr = C + index*bytes (lo)
_v_addc_co_u32 v13, vcc, v5, v9, vcc               // addrVgpr = C + index*bytes (hi)
_global_load_b32 v11, v[12:13], off, offset:0      // load C for beta calc
GLOBAL_OFFSET_D 12, 0, 1, sgprWorkGroup2, 8
v_mov_b32 v8, v12                                  // temp store offset 0
v_mov_b32 v9, v13                                  // temp store offset 1
_v_add_co_u32 v12, vcc, v2, v8                     // addrVgpr = D + index*bytes (lo)
_v_addc_co_u32 v13, vcc, v3, v9, vcc               // addrVgpr = D + index*bytes (hi)
/* (d1,vc1,d0,vc0)=(5,1,1,0) */
_v_add_co_u32 v6, vcc, v0, 64                      // coord0.1: coord0 += d0*sg0*VW + vc0
GLOBAL_OFFSET_C 16, 6, 1, sgprWorkGroup2, 8
v_mov_b32 v8, v16                                  // temp store offset 0
v_mov_b32 v9, v17                                  // temp store offset 1
_v_add_co_u32 v16, vcc, v4, v8                     // addrVgpr = C + index*bytes (lo)
_v_addc_co_u32 v17, vcc, v5, v9, vcc               // addrVgpr = C + index*bytes (hi)
_global_load_b32 v15, v[16:17], off, offset:0      // load C for beta calc
GLOBAL_OFFSET_D 16, 6, 1, sgprWorkGroup2, 8
v_mov_b32 v8, v16                                  // temp store offset 0
v_mov_b32 v9, v17                                  // temp store offset 1
_v_add_co_u32 v16, vcc, v2, v8                     // addrVgpr = D + index*bytes (lo)
_v_addc_co_u32 v17, vcc, v3, v9, vcc               // addrVgpr = D + index*bytes (hi)
v_accvgpr_read_b32 v[vgprValuC+14], acc37 // copy acc to vreg[42]
v_accvgpr_read_b32 v[vgprValuC+18], acc53 // copy acc to vreg[43]
s_nop 1                                            // 2 wait states required before reading vgpr

/* rC *= alpha batchElements=[(5, 0, 1, 0), (5, 1, 1, 0)] */
v_mul_f32 v[vgprValuC+14], s[sgprAlpha], v[vgprValuC+14] // *= alpha
v_mul_f32 v[vgprValuC+18], s[sgprAlpha], v[vgprValuC+18] // *= alpha
s_waitcnt vmcnt(0)                                 // wait C

/* apply mask, calc new C and issue writes */
_v_mac_f32 v[vgprValuC+14], v11, s[sgprBeta]       // finalSum = sum*alpha + C*beta
_global_store_b32 v[12:13], v14, off               // store D
_v_mac_f32 v[vgprValuC+18], v15, s[sgprBeta]       // finalSum = sum*alpha + C*beta
_global_store_b32 v[16:17], v18, off               // store D
s_nop 0                                            // 1 wait state required when next inst writes vgprs held by previous dwordx4 store inst
/* optSingleColVgpr=0 optSharedColVgpr=0 optSGPRUsage=None optSrdIncForRow=0 */

/******************************************/
/* Global Write Alpha Beta Batch #22 (d1,d0,vc1,vc0) = */
/*    (5,0,2,0:vw1); (5,1,2,0:vw1)        */
/******************************************/

/* calc coords, apply mask, and issue loads (if necessary) */
/* (d1,vc1,d0,vc0)=(5,2,0,0) */
_v_add_co_u32 v1, vcc, v1, 1                       // coord1.1: coord1Vgpr += d1*sg1*VW + vc1
GLOBAL_OFFSET_C 12, 0, 1, sgprWorkGroup2, 8
v_mov_b32 v8, v12                                  // temp store offset 0
v_mov_b32 v9, v13                                  // temp store offset 1
_v_add_co_u32 v12, vcc, v4, v8                     // addrVgpr = C + index*bytes (lo)
_v_addc_co_u32 v13, vcc, v5, v9, vcc               // addrVgpr = C + index*bytes (hi)
_global_load_b32 v11, v[12:13], off, offset:0      // load C for beta calc
GLOBAL_OFFSET_D 12, 0, 1, sgprWorkGroup2, 8
v_mov_b32 v8, v12                                  // temp store offset 0
v_mov_b32 v9, v13                                  // temp store offset 1
_v_add_co_u32 v12, vcc, v2, v8                     // addrVgpr = D + index*bytes (lo)
_v_addc_co_u32 v13, vcc, v3, v9, vcc               // addrVgpr = D + index*bytes (hi)
/* (d1,vc1,d0,vc0)=(5,2,1,0) */
_v_add_co_u32 v6, vcc, v0, 64                      // coord0.1: coord0 += d0*sg0*VW + vc0
GLOBAL_OFFSET_C 16, 6, 1, sgprWorkGroup2, 8
v_mov_b32 v8, v16                                  // temp store offset 0
v_mov_b32 v9, v17                                  // temp store offset 1
_v_add_co_u32 v16, vcc, v4, v8                     // addrVgpr = C + index*bytes (lo)
_v_addc_co_u32 v17, vcc, v5, v9, vcc               // addrVgpr = C + index*bytes (hi)
_global_load_b32 v15, v[16:17], off, offset:0      // load C for beta calc
GLOBAL_OFFSET_D 16, 6, 1, sgprWorkGroup2, 8
v_mov_b32 v8, v16                                  // temp store offset 0
v_mov_b32 v9, v17                                  // temp store offset 1
_v_add_co_u32 v16, vcc, v2, v8                     // addrVgpr = D + index*bytes (lo)
_v_addc_co_u32 v17, vcc, v3, v9, vcc               // addrVgpr = D + index*bytes (hi)
v_accvgpr_read_b32 v[vgprValuC+14], acc38 // copy acc to vreg[44]
v_accvgpr_read_b32 v[vgprValuC+18], acc54 // copy acc to vreg[45]
s_nop 1                                            // 2 wait states required before reading vgpr

/* rC *= alpha batchElements=[(5, 0, 2, 0), (5, 1, 2, 0)] */
v_mul_f32 v[vgprValuC+14], s[sgprAlpha], v[vgprValuC+14] // *= alpha
v_mul_f32 v[vgprValuC+18], s[sgprAlpha], v[vgprValuC+18] // *= alpha
s_waitcnt vmcnt(0)                                 // wait C

/* apply mask, calc new C and issue writes */
_v_mac_f32 v[vgprValuC+14], v11, s[sgprBeta]       // finalSum = sum*alpha + C*beta
_global_store_b32 v[12:13], v14, off               // store D
_v_mac_f32 v[vgprValuC+18], v15, s[sgprBeta]       // finalSum = sum*alpha + C*beta
_global_store_b32 v[16:17], v18, off               // store D
s_nop 0                                            // 1 wait state required when next inst writes vgprs held by previous dwordx4 store inst
/* optSingleColVgpr=0 optSharedColVgpr=0 optSGPRUsage=None optSrdIncForRow=0 */

/******************************************/
/* Global Write Alpha Beta Batch #23 (d1,d0,vc1,vc0) = */
/*    (5,0,3,0:vw1); (5,1,3,0:vw1)        */
/******************************************/

/* calc coords, apply mask, and issue loads (if necessary) */
/* (d1,vc1,d0,vc0)=(5,3,0,0) */
_v_add_co_u32 v1, vcc, v1, 1                       // coord1.1: coord1Vgpr += d1*sg1*VW + vc1
GLOBAL_OFFSET_C 12, 0, 1, sgprWorkGroup2, 8
v_mov_b32 v8, v12                                  // temp store offset 0
v_mov_b32 v9, v13                                  // temp store offset 1
_v_add_co_u32 v12, vcc, v4, v8                     // addrVgpr = C + index*bytes (lo)
_v_addc_co_u32 v13, vcc, v5, v9, vcc               // addrVgpr = C + index*bytes (hi)
_global_load_b32 v11, v[12:13], off, offset:0      // load C for beta calc
GLOBAL_OFFSET_D 12, 0, 1, sgprWorkGroup2, 8
v_mov_b32 v8, v12                                  // temp store offset 0
v_mov_b32 v9, v13                                  // temp store offset 1
_v_add_co_u32 v12, vcc, v2, v8                     // addrVgpr = D + index*bytes (lo)
_v_addc_co_u32 v13, vcc, v3, v9, vcc               // addrVgpr = D + index*bytes (hi)
/* (d1,vc1,d0,vc0)=(5,3,1,0) */
_v_add_co_u32 v6, vcc, v0, 64                      // coord0.1: coord0 += d0*sg0*VW + vc0
GLOBAL_OFFSET_C 16, 6, 1, sgprWorkGroup2, 8
v_mov_b32 v8, v16                                  // temp store offset 0
v_mov_b32 v9, v17                                  // temp store offset 1
_v_add_co_u32 v16, vcc, v4, v8                     // addrVgpr = C + index*bytes (lo)
_v_addc_co_u32 v17, vcc, v5, v9, vcc               // addrVgpr = C + index*bytes (hi)
_global_load_b32 v15, v[16:17], off, offset:0      // load C for beta calc
GLOBAL_OFFSET_D 16, 6, 1, sgprWorkGroup2, 8
v_mov_b32 v8, v16                                  // temp store offset 0
v_mov_b32 v9, v17                                  // temp store offset 1
_v_add_co_u32 v16, vcc, v2, v8                     // addrVgpr = D + index*bytes (lo)
_v_addc_co_u32 v17, vcc, v3, v9, vcc               // addrVgpr = D + index*bytes (hi)
v_accvgpr_read_b32 v[vgprValuC+14], acc39 // copy acc to vreg[46]
v_accvgpr_read_b32 v[vgprValuC+18], acc55 // copy acc to vreg[47]
s_nop 1                                            // 2 wait states required before reading vgpr

/* rC *= alpha batchElements=[(5, 0, 3, 0), (5, 1, 3, 0)] */
v_mul_f32 v[vgprValuC+14], s[sgprAlpha], v[vgprValuC+14] // *= alpha
v_mul_f32 v[vgprValuC+18], s[sgprAlpha], v[vgprValuC+18] // *= alpha
s_waitcnt vmcnt(0)                                 // wait C

/* apply mask, calc new C and issue writes */
_v_mac_f32 v[vgprValuC+14], v11, s[sgprBeta]       // finalSum = sum*alpha + C*beta
_global_store_b32 v[12:13], v14, off               // store D
_v_mac_f32 v[vgprValuC+18], v15, s[sgprBeta]       // finalSum = sum*alpha + C*beta
_global_store_b32 v[16:17], v18, off               // store D
s_nop 0                                            // 1 wait state required when next inst writes vgprs held by previous dwordx4 store inst
/* optSingleColVgpr=0 optSharedColVgpr=0 optSGPRUsage=None optSrdIncForRow=0 */

/******************************************/
/* Global Write Alpha Beta Batch #24 (d1,d0,vc1,vc0) = */
/*    (6,0,0,0:vw1); (6,1,0,0:vw1)        */
/******************************************/

/* calc coords, apply mask, and issue loads (if necessary) */
/* (d1,vc1,d0,vc0)=(6,0,0,0) */
_v_add_co_u32 v1, vcc, v1, 5                       // coord1.1: coord1Vgpr += d1*sg1*VW + vc1
GLOBAL_OFFSET_C 12, 0, 1, sgprWorkGroup2, 8
v_mov_b32 v8, v12                                  // temp store offset 0
v_mov_b32 v9, v13                                  // temp store offset 1
_v_add_co_u32 v12, vcc, v4, v8                     // addrVgpr = C + index*bytes (lo)
_v_addc_co_u32 v13, vcc, v5, v9, vcc               // addrVgpr = C + index*bytes (hi)
_global_load_b32 v11, v[12:13], off, offset:0      // load C for beta calc
GLOBAL_OFFSET_D 12, 0, 1, sgprWorkGroup2, 8
v_mov_b32 v8, v12                                  // temp store offset 0
v_mov_b32 v9, v13                                  // temp store offset 1
_v_add_co_u32 v12, vcc, v2, v8                     // addrVgpr = D + index*bytes (lo)
_v_addc_co_u32 v13, vcc, v3, v9, vcc               // addrVgpr = D + index*bytes (hi)
/* (d1,vc1,d0,vc0)=(6,0,1,0) */
_v_add_co_u32 v6, vcc, v0, 64                      // coord0.1: coord0 += d0*sg0*VW + vc0
GLOBAL_OFFSET_C 16, 6, 1, sgprWorkGroup2, 8
v_mov_b32 v8, v16                                  // temp store offset 0
v_mov_b32 v9, v17                                  // temp store offset 1
_v_add_co_u32 v16, vcc, v4, v8                     // addrVgpr = C + index*bytes (lo)
_v_addc_co_u32 v17, vcc, v5, v9, vcc               // addrVgpr = C + index*bytes (hi)
_global_load_b32 v15, v[16:17], off, offset:0      // load C for beta calc
GLOBAL_OFFSET_D 16, 6, 1, sgprWorkGroup2, 8
v_mov_b32 v8, v16                                  // temp store offset 0
v_mov_b32 v9, v17                                  // temp store offset 1
_v_add_co_u32 v16, vcc, v2, v8                     // addrVgpr = D + index*bytes (lo)
_v_addc_co_u32 v17, vcc, v3, v9, vcc               // addrVgpr = D + index*bytes (hi)
v_accvgpr_read_b32 v[vgprValuC+14], acc40 // copy acc to vreg[48]
v_accvgpr_read_b32 v[vgprValuC+18], acc56 // copy acc to vreg[49]
s_nop 1                                            // 2 wait states required before reading vgpr

/* rC *= alpha batchElements=[(6, 0, 0, 0), (6, 1, 0, 0)] */
v_mul_f32 v[vgprValuC+14], s[sgprAlpha], v[vgprValuC+14] // *= alpha
v_mul_f32 v[vgprValuC+18], s[sgprAlpha], v[vgprValuC+18] // *= alpha
s_waitcnt vmcnt(0)                                 // wait C

/* apply mask, calc new C and issue writes */
_v_mac_f32 v[vgprValuC+14], v11, s[sgprBeta]       // finalSum = sum*alpha + C*beta
_global_store_b32 v[12:13], v14, off               // store D
_v_mac_f32 v[vgprValuC+18], v15, s[sgprBeta]       // finalSum = sum*alpha + C*beta
_global_store_b32 v[16:17], v18, off               // store D
s_nop 0                                            // 1 wait state required when next inst writes vgprs held by previous dwordx4 store inst
/* optSingleColVgpr=0 optSharedColVgpr=0 optSGPRUsage=None optSrdIncForRow=0 */

/******************************************/
/* Global Write Alpha Beta Batch #25 (d1,d0,vc1,vc0) = */
/*    (6,0,1,0:vw1); (6,1,1,0:vw1)        */
/******************************************/

/* calc coords, apply mask, and issue loads (if necessary) */
/* (d1,vc1,d0,vc0)=(6,1,0,0) */
_v_add_co_u32 v1, vcc, v1, 1                       // coord1.1: coord1Vgpr += d1*sg1*VW + vc1
GLOBAL_OFFSET_C 12, 0, 1, sgprWorkGroup2, 8
v_mov_b32 v8, v12                                  // temp store offset 0
v_mov_b32 v9, v13                                  // temp store offset 1
_v_add_co_u32 v12, vcc, v4, v8                     // addrVgpr = C + index*bytes (lo)
_v_addc_co_u32 v13, vcc, v5, v9, vcc               // addrVgpr = C + index*bytes (hi)
_global_load_b32 v11, v[12:13], off, offset:0      // load C for beta calc
GLOBAL_OFFSET_D 12, 0, 1, sgprWorkGroup2, 8
v_mov_b32 v8, v12                                  // temp store offset 0
v_mov_b32 v9, v13                                  // temp store offset 1
_v_add_co_u32 v12, vcc, v2, v8                     // addrVgpr = D + index*bytes (lo)
_v_addc_co_u32 v13, vcc, v3, v9, vcc               // addrVgpr = D + index*bytes (hi)
/* (d1,vc1,d0,vc0)=(6,1,1,0) */
_v_add_co_u32 v6, vcc, v0, 64                      // coord0.1: coord0 += d0*sg0*VW + vc0
GLOBAL_OFFSET_C 16, 6, 1, sgprWorkGroup2, 8
v_mov_b32 v8, v16                                  // temp store offset 0
v_mov_b32 v9, v17                                  // temp store offset 1
_v_add_co_u32 v16, vcc, v4, v8                     // addrVgpr = C + index*bytes (lo)
_v_addc_co_u32 v17, vcc, v5, v9, vcc               // addrVgpr = C + index*bytes (hi)
_global_load_b32 v15, v[16:17], off, offset:0      // load C for beta calc
GLOBAL_OFFSET_D 16, 6, 1, sgprWorkGroup2, 8
v_mov_b32 v8, v16                                  // temp store offset 0
v_mov_b32 v9, v17                                  // temp store offset 1
_v_add_co_u32 v16, vcc, v2, v8                     // addrVgpr = D + index*bytes (lo)
_v_addc_co_u32 v17, vcc, v3, v9, vcc               // addrVgpr = D + index*bytes (hi)
v_accvgpr_read_b32 v[vgprValuC+14], acc41 // copy acc to vreg[50]
v_accvgpr_read_b32 v[vgprValuC+18], acc57 // copy acc to vreg[51]
s_nop 1                                            // 2 wait states required before reading vgpr

/* rC *= alpha batchElements=[(6, 0, 1, 0), (6, 1, 1, 0)] */
v_mul_f32 v[vgprValuC+14], s[sgprAlpha], v[vgprValuC+14] // *= alpha
v_mul_f32 v[vgprValuC+18], s[sgprAlpha], v[vgprValuC+18] // *= alpha
s_waitcnt vmcnt(0)                                 // wait C

/* apply mask, calc new C and issue writes */
_v_mac_f32 v[vgprValuC+14], v11, s[sgprBeta]       // finalSum = sum*alpha + C*beta
_global_store_b32 v[12:13], v14, off               // store D
_v_mac_f32 v[vgprValuC+18], v15, s[sgprBeta]       // finalSum = sum*alpha + C*beta
_global_store_b32 v[16:17], v18, off               // store D
s_nop 0                                            // 1 wait state required when next inst writes vgprs held by previous dwordx4 store inst
/* optSingleColVgpr=0 optSharedColVgpr=0 optSGPRUsage=None optSrdIncForRow=0 */

/******************************************/
/* Global Write Alpha Beta Batch #26 (d1,d0,vc1,vc0) = */
/*    (6,0,2,0:vw1); (6,1,2,0:vw1)        */
/******************************************/

/* calc coords, apply mask, and issue loads (if necessary) */
/* (d1,vc1,d0,vc0)=(6,2,0,0) */
_v_add_co_u32 v1, vcc, v1, 1                       // coord1.1: coord1Vgpr += d1*sg1*VW + vc1
GLOBAL_OFFSET_C 12, 0, 1, sgprWorkGroup2, 8
v_mov_b32 v8, v12                                  // temp store offset 0
v_mov_b32 v9, v13                                  // temp store offset 1
_v_add_co_u32 v12, vcc, v4, v8                     // addrVgpr = C + index*bytes (lo)
_v_addc_co_u32 v13, vcc, v5, v9, vcc               // addrVgpr = C + index*bytes (hi)
_global_load_b32 v11, v[12:13], off, offset:0      // load C for beta calc
GLOBAL_OFFSET_D 12, 0, 1, sgprWorkGroup2, 8
v_mov_b32 v8, v12                                  // temp store offset 0
v_mov_b32 v9, v13                                  // temp store offset 1
_v_add_co_u32 v12, vcc, v2, v8                     // addrVgpr = D + index*bytes (lo)
_v_addc_co_u32 v13, vcc, v3, v9, vcc               // addrVgpr = D + index*bytes (hi)
/* (d1,vc1,d0,vc0)=(6,2,1,0) */
_v_add_co_u32 v6, vcc, v0, 64                      // coord0.1: coord0 += d0*sg0*VW + vc0
GLOBAL_OFFSET_C 16, 6, 1, sgprWorkGroup2, 8
v_mov_b32 v8, v16                                  // temp store offset 0
v_mov_b32 v9, v17                                  // temp store offset 1
_v_add_co_u32 v16, vcc, v4, v8                     // addrVgpr = C + index*bytes (lo)
_v_addc_co_u32 v17, vcc, v5, v9, vcc               // addrVgpr = C + index*bytes (hi)
_global_load_b32 v15, v[16:17], off, offset:0      // load C for beta calc
GLOBAL_OFFSET_D 16, 6, 1, sgprWorkGroup2, 8
v_mov_b32 v8, v16                                  // temp store offset 0
v_mov_b32 v9, v17                                  // temp store offset 1
_v_add_co_u32 v16, vcc, v2, v8                     // addrVgpr = D + index*bytes (lo)
_v_addc_co_u32 v17, vcc, v3, v9, vcc               // addrVgpr = D + index*bytes (hi)
v_accvgpr_read_b32 v[vgprValuC+14], acc42 // copy acc to vreg[52]
v_accvgpr_read_b32 v[vgprValuC+18], acc58 // copy acc to vreg[53]
s_nop 1                                            // 2 wait states required before reading vgpr

/* rC *= alpha batchElements=[(6, 0, 2, 0), (6, 1, 2, 0)] */
v_mul_f32 v[vgprValuC+14], s[sgprAlpha], v[vgprValuC+14] // *= alpha
v_mul_f32 v[vgprValuC+18], s[sgprAlpha], v[vgprValuC+18] // *= alpha
s_waitcnt vmcnt(0)                                 // wait C

/* apply mask, calc new C and issue writes */
_v_mac_f32 v[vgprValuC+14], v11, s[sgprBeta]       // finalSum = sum*alpha + C*beta
_global_store_b32 v[12:13], v14, off               // store D
_v_mac_f32 v[vgprValuC+18], v15, s[sgprBeta]       // finalSum = sum*alpha + C*beta
_global_store_b32 v[16:17], v18, off               // store D
s_nop 0                                            // 1 wait state required when next inst writes vgprs held by previous dwordx4 store inst
/* optSingleColVgpr=0 optSharedColVgpr=0 optSGPRUsage=None optSrdIncForRow=0 */

/******************************************/
/* Global Write Alpha Beta Batch #27 (d1,d0,vc1,vc0) = */
/*    (6,0,3,0:vw1); (6,1,3,0:vw1)        */
/******************************************/

/* calc coords, apply mask, and issue loads (if necessary) */
/* (d1,vc1,d0,vc0)=(6,3,0,0) */
_v_add_co_u32 v1, vcc, v1, 1                       // coord1.1: coord1Vgpr += d1*sg1*VW + vc1
GLOBAL_OFFSET_C 12, 0, 1, sgprWorkGroup2, 8
v_mov_b32 v8, v12                                  // temp store offset 0
v_mov_b32 v9, v13                                  // temp store offset 1
_v_add_co_u32 v12, vcc, v4, v8                     // addrVgpr = C + index*bytes (lo)
_v_addc_co_u32 v13, vcc, v5, v9, vcc               // addrVgpr = C + index*bytes (hi)
_global_load_b32 v11, v[12:13], off, offset:0      // load C for beta calc
GLOBAL_OFFSET_D 12, 0, 1, sgprWorkGroup2, 8
v_mov_b32 v8, v12                                  // temp store offset 0
v_mov_b32 v9, v13                                  // temp store offset 1
_v_add_co_u32 v12, vcc, v2, v8                     // addrVgpr = D + index*bytes (lo)
_v_addc_co_u32 v13, vcc, v3, v9, vcc               // addrVgpr = D + index*bytes (hi)
/* (d1,vc1,d0,vc0)=(6,3,1,0) */
_v_add_co_u32 v6, vcc, v0, 64                      // coord0.1: coord0 += d0*sg0*VW + vc0
GLOBAL_OFFSET_C 16, 6, 1, sgprWorkGroup2, 8
v_mov_b32 v8, v16                                  // temp store offset 0
v_mov_b32 v9, v17                                  // temp store offset 1
_v_add_co_u32 v16, vcc, v4, v8                     // addrVgpr = C + index*bytes (lo)
_v_addc_co_u32 v17, vcc, v5, v9, vcc               // addrVgpr = C + index*bytes (hi)
_global_load_b32 v15, v[16:17], off, offset:0      // load C for beta calc
GLOBAL_OFFSET_D 16, 6, 1, sgprWorkGroup2, 8
v_mov_b32 v8, v16                                  // temp store offset 0
v_mov_b32 v9, v17                                  // temp store offset 1
_v_add_co_u32 v16, vcc, v2, v8                     // addrVgpr = D + index*bytes (lo)
_v_addc_co_u32 v17, vcc, v3, v9, vcc               // addrVgpr = D + index*bytes (hi)
v_accvgpr_read_b32 v[vgprValuC+14], acc43 // copy acc to vreg[54]
v_accvgpr_read_b32 v[vgprValuC+18], acc59 // copy acc to vreg[55]
s_nop 1                                            // 2 wait states required before reading vgpr

/* rC *= alpha batchElements=[(6, 0, 3, 0), (6, 1, 3, 0)] */
v_mul_f32 v[vgprValuC+14], s[sgprAlpha], v[vgprValuC+14] // *= alpha
v_mul_f32 v[vgprValuC+18], s[sgprAlpha], v[vgprValuC+18] // *= alpha
s_waitcnt vmcnt(0)                                 // wait C

/* apply mask, calc new C and issue writes */
_v_mac_f32 v[vgprValuC+14], v11, s[sgprBeta]       // finalSum = sum*alpha + C*beta
_global_store_b32 v[12:13], v14, off               // store D
_v_mac_f32 v[vgprValuC+18], v15, s[sgprBeta]       // finalSum = sum*alpha + C*beta
_global_store_b32 v[16:17], v18, off               // store D
s_nop 0                                            // 1 wait state required when next inst writes vgprs held by previous dwordx4 store inst
/* optSingleColVgpr=0 optSharedColVgpr=0 optSGPRUsage=None optSrdIncForRow=0 */

/******************************************/
/* Global Write Alpha Beta Batch #28 (d1,d0,vc1,vc0) = */
/*    (7,0,0,0:vw1); (7,1,0,0:vw1)        */
/******************************************/

/* calc coords, apply mask, and issue loads (if necessary) */
/* (d1,vc1,d0,vc0)=(7,0,0,0) */
_v_add_co_u32 v1, vcc, v1, 5                       // coord1.1: coord1Vgpr += d1*sg1*VW + vc1
GLOBAL_OFFSET_C 12, 0, 1, sgprWorkGroup2, 8
v_mov_b32 v8, v12                                  // temp store offset 0
v_mov_b32 v9, v13                                  // temp store offset 1
_v_add_co_u32 v12, vcc, v4, v8                     // addrVgpr = C + index*bytes (lo)
_v_addc_co_u32 v13, vcc, v5, v9, vcc               // addrVgpr = C + index*bytes (hi)
_global_load_b32 v11, v[12:13], off, offset:0      // load C for beta calc
GLOBAL_OFFSET_D 12, 0, 1, sgprWorkGroup2, 8
v_mov_b32 v8, v12                                  // temp store offset 0
v_mov_b32 v9, v13                                  // temp store offset 1
_v_add_co_u32 v12, vcc, v2, v8                     // addrVgpr = D + index*bytes (lo)
_v_addc_co_u32 v13, vcc, v3, v9, vcc               // addrVgpr = D + index*bytes (hi)
/* (d1,vc1,d0,vc0)=(7,0,1,0) */
_v_add_co_u32 v6, vcc, v0, 64                      // coord0.1: coord0 += d0*sg0*VW + vc0
GLOBAL_OFFSET_C 16, 6, 1, sgprWorkGroup2, 8
v_mov_b32 v8, v16                                  // temp store offset 0
v_mov_b32 v9, v17                                  // temp store offset 1
_v_add_co_u32 v16, vcc, v4, v8                     // addrVgpr = C + index*bytes (lo)
_v_addc_co_u32 v17, vcc, v5, v9, vcc               // addrVgpr = C + index*bytes (hi)
_global_load_b32 v15, v[16:17], off, offset:0      // load C for beta calc
GLOBAL_OFFSET_D 16, 6, 1, sgprWorkGroup2, 8
v_mov_b32 v8, v16                                  // temp store offset 0
v_mov_b32 v9, v17                                  // temp store offset 1
_v_add_co_u32 v16, vcc, v2, v8                     // addrVgpr = D + index*bytes (lo)
_v_addc_co_u32 v17, vcc, v3, v9, vcc               // addrVgpr = D + index*bytes (hi)
v_accvgpr_read_b32 v[vgprValuC+14], acc44 // copy acc to vreg[56]
v_accvgpr_read_b32 v[vgprValuC+18], acc60 // copy acc to vreg[57]
s_nop 1                                            // 2 wait states required before reading vgpr

/* rC *= alpha batchElements=[(7, 0, 0, 0), (7, 1, 0, 0)] */
v_mul_f32 v[vgprValuC+14], s[sgprAlpha], v[vgprValuC+14] // *= alpha
v_mul_f32 v[vgprValuC+18], s[sgprAlpha], v[vgprValuC+18] // *= alpha
s_waitcnt vmcnt(0)                                 // wait C

/* apply mask, calc new C and issue writes */
_v_mac_f32 v[vgprValuC+14], v11, s[sgprBeta]       // finalSum = sum*alpha + C*beta
_global_store_b32 v[12:13], v14, off               // store D
_v_mac_f32 v[vgprValuC+18], v15, s[sgprBeta]       // finalSum = sum*alpha + C*beta
_global_store_b32 v[16:17], v18, off               // store D
s_nop 0                                            // 1 wait state required when next inst writes vgprs held by previous dwordx4 store inst
/* optSingleColVgpr=0 optSharedColVgpr=0 optSGPRUsage=None optSrdIncForRow=0 */

/******************************************/
/* Global Write Alpha Beta Batch #29 (d1,d0,vc1,vc0) = */
/*    (7,0,1,0:vw1); (7,1,1,0:vw1)        */
/******************************************/

/* calc coords, apply mask, and issue loads (if necessary) */
/* (d1,vc1,d0,vc0)=(7,1,0,0) */
_v_add_co_u32 v1, vcc, v1, 1                       // coord1.1: coord1Vgpr += d1*sg1*VW + vc1
GLOBAL_OFFSET_C 12, 0, 1, sgprWorkGroup2, 8
v_mov_b32 v8, v12                                  // temp store offset 0
v_mov_b32 v9, v13                                  // temp store offset 1
_v_add_co_u32 v12, vcc, v4, v8                     // addrVgpr = C + index*bytes (lo)
_v_addc_co_u32 v13, vcc, v5, v9, vcc               // addrVgpr = C + index*bytes (hi)
_global_load_b32 v11, v[12:13], off, offset:0      // load C for beta calc
GLOBAL_OFFSET_D 12, 0, 1, sgprWorkGroup2, 8
v_mov_b32 v8, v12                                  // temp store offset 0
v_mov_b32 v9, v13                                  // temp store offset 1
_v_add_co_u32 v12, vcc, v2, v8                     // addrVgpr = D + index*bytes (lo)
_v_addc_co_u32 v13, vcc, v3, v9, vcc               // addrVgpr = D + index*bytes (hi)
/* (d1,vc1,d0,vc0)=(7,1,1,0) */
_v_add_co_u32 v6, vcc, v0, 64                      // coord0.1: coord0 += d0*sg0*VW + vc0
GLOBAL_OFFSET_C 16, 6, 1, sgprWorkGroup2, 8
v_mov_b32 v8, v16                                  // temp store offset 0
v_mov_b32 v9, v17                                  // temp store offset 1
_v_add_co_u32 v16, vcc, v4, v8                     // addrVgpr = C + index*bytes (lo)
_v_addc_co_u32 v17, vcc, v5, v9, vcc               // addrVgpr = C + index*bytes (hi)
_global_load_b32 v15, v[16:17], off, offset:0      // load C for beta calc
GLOBAL_OFFSET_D 16, 6, 1, sgprWorkGroup2, 8
v_mov_b32 v8, v16                                  // temp store offset 0
v_mov_b32 v9, v17                                  // temp store offset 1
_v_add_co_u32 v16, vcc, v2, v8                     // addrVgpr = D + index*bytes (lo)
_v_addc_co_u32 v17, vcc, v3, v9, vcc               // addrVgpr = D + index*bytes (hi)
v_accvgpr_read_b32 v[vgprValuC+14], acc45 // copy acc to vreg[58]
v_accvgpr_read_b32 v[vgprValuC+18], acc61 // copy acc to vreg[59]
s_nop 1                                            // 2 wait states required before reading vgpr

/* rC *= alpha batchElements=[(7, 0, 1, 0), (7, 1, 1, 0)] */
v_mul_f32 v[vgprValuC+14], s[sgprAlpha], v[vgprValuC+14] // *= alpha
v_mul_f32 v[vgprValuC+18], s[sgprAlpha], v[vgprValuC+18] // *= alpha
s_waitcnt vmcnt(0)                                 // wait C

/* apply mask, calc new C and issue writes */
_v_mac_f32 v[vgprValuC+14], v11, s[sgprBeta]       // finalSum = sum*alpha + C*beta
_global_store_b32 v[12:13], v14, off               // store D
_v_mac_f32 v[vgprValuC+18], v15, s[sgprBeta]       // finalSum = sum*alpha + C*beta
_global_store_b32 v[16:17], v18, off               // store D
s_nop 0                                            // 1 wait state required when next inst writes vgprs held by previous dwordx4 store inst
/* optSingleColVgpr=0 optSharedColVgpr=0 optSGPRUsage=None optSrdIncForRow=0 */

/******************************************/
/* Global Write Alpha Beta Batch #30 (d1,d0,vc1,vc0) = */
/*    (7,0,2,0:vw1); (7,1,2,0:vw1)        */
/******************************************/

/* calc coords, apply mask, and issue loads (if necessary) */
/* (d1,vc1,d0,vc0)=(7,2,0,0) */
_v_add_co_u32 v1, vcc, v1, 1                       // coord1.1: coord1Vgpr += d1*sg1*VW + vc1
GLOBAL_OFFSET_C 12, 0, 1, sgprWorkGroup2, 8
v_mov_b32 v8, v12                                  // temp store offset 0
v_mov_b32 v9, v13                                  // temp store offset 1
_v_add_co_u32 v12, vcc, v4, v8                     // addrVgpr = C + index*bytes (lo)
_v_addc_co_u32 v13, vcc, v5, v9, vcc               // addrVgpr = C + index*bytes (hi)
_global_load_b32 v11, v[12:13], off, offset:0      // load C for beta calc
GLOBAL_OFFSET_D 12, 0, 1, sgprWorkGroup2, 8
v_mov_b32 v8, v12                                  // temp store offset 0
v_mov_b32 v9, v13                                  // temp store offset 1
_v_add_co_u32 v12, vcc, v2, v8                     // addrVgpr = D + index*bytes (lo)
_v_addc_co_u32 v13, vcc, v3, v9, vcc               // addrVgpr = D + index*bytes (hi)
/* (d1,vc1,d0,vc0)=(7,2,1,0) */
_v_add_co_u32 v6, vcc, v0, 64                      // coord0.1: coord0 += d0*sg0*VW + vc0
GLOBAL_OFFSET_C 16, 6, 1, sgprWorkGroup2, 8
v_mov_b32 v8, v16                                  // temp store offset 0
v_mov_b32 v9, v17                                  // temp store offset 1
_v_add_co_u32 v16, vcc, v4, v8                     // addrVgpr = C + index*bytes (lo)
_v_addc_co_u32 v17, vcc, v5, v9, vcc               // addrVgpr = C + index*bytes (hi)
_global_load_b32 v15, v[16:17], off, offset:0      // load C for beta calc
GLOBAL_OFFSET_D 16, 6, 1, sgprWorkGroup2, 8
v_mov_b32 v8, v16                                  // temp store offset 0
v_mov_b32 v9, v17                                  // temp store offset 1
_v_add_co_u32 v16, vcc, v2, v8                     // addrVgpr = D + index*bytes (lo)
_v_addc_co_u32 v17, vcc, v3, v9, vcc               // addrVgpr = D + index*bytes (hi)
v_accvgpr_read_b32 v[vgprValuC+14], acc46 // copy acc to vreg[60]
v_accvgpr_read_b32 v[vgprValuC+18], acc62 // copy acc to vreg[61]
s_nop 1                                            // 2 wait states required before reading vgpr

/* rC *= alpha batchElements=[(7, 0, 2, 0), (7, 1, 2, 0)] */
v_mul_f32 v[vgprValuC+14], s[sgprAlpha], v[vgprValuC+14] // *= alpha
v_mul_f32 v[vgprValuC+18], s[sgprAlpha], v[vgprValuC+18] // *= alpha
s_waitcnt vmcnt(0)                                 // wait C

/* apply mask, calc new C and issue writes */
_v_mac_f32 v[vgprValuC+14], v11, s[sgprBeta]       // finalSum = sum*alpha + C*beta
_global_store_b32 v[12:13], v14, off               // store D
_v_mac_f32 v[vgprValuC+18], v15, s[sgprBeta]       // finalSum = sum*alpha + C*beta
_global_store_b32 v[16:17], v18, off               // store D
s_nop 0                                            // 1 wait state required when next inst writes vgprs held by previous dwordx4 store inst
/* optSingleColVgpr=0 optSharedColVgpr=0 optSGPRUsage=None optSrdIncForRow=0 */

/******************************************/
/* Global Write Alpha Beta Batch #31 (d1,d0,vc1,vc0) = */
/*    (7,0,3,0:vw1); (7,1,3,0:vw1)        */
/******************************************/

/* calc coords, apply mask, and issue loads (if necessary) */
/* (d1,vc1,d0,vc0)=(7,3,0,0) */
_v_add_co_u32 v1, vcc, v1, 1                       // coord1.1: coord1Vgpr += d1*sg1*VW + vc1
GLOBAL_OFFSET_C 12, 0, 1, sgprWorkGroup2, 8
v_mov_b32 v8, v12                                  // temp store offset 0
v_mov_b32 v9, v13                                  // temp store offset 1
_v_add_co_u32 v12, vcc, v4, v8                     // addrVgpr = C + index*bytes (lo)
_v_addc_co_u32 v13, vcc, v5, v9, vcc               // addrVgpr = C + index*bytes (hi)
_global_load_b32 v11, v[12:13], off, offset:0      // load C for beta calc
GLOBAL_OFFSET_D 12, 0, 1, sgprWorkGroup2, 8
v_mov_b32 v8, v12                                  // temp store offset 0
v_mov_b32 v9, v13                                  // temp store offset 1
_v_add_co_u32 v12, vcc, v2, v8                     // addrVgpr = D + index*bytes (lo)
_v_addc_co_u32 v13, vcc, v3, v9, vcc               // addrVgpr = D + index*bytes (hi)
/* (d1,vc1,d0,vc0)=(7,3,1,0) */
_v_add_co_u32 v6, vcc, v0, 64                      // coord0.1: coord0 += d0*sg0*VW + vc0
GLOBAL_OFFSET_C 16, 6, 1, sgprWorkGroup2, 8
v_mov_b32 v8, v16                                  // temp store offset 0
v_mov_b32 v9, v17                                  // temp store offset 1
_v_add_co_u32 v16, vcc, v4, v8                     // addrVgpr = C + index*bytes (lo)
_v_addc_co_u32 v17, vcc, v5, v9, vcc               // addrVgpr = C + index*bytes (hi)
_global_load_b32 v15, v[16:17], off, offset:0      // load C for beta calc
GLOBAL_OFFSET_D 16, 6, 1, sgprWorkGroup2, 8
v_mov_b32 v8, v16                                  // temp store offset 0
v_mov_b32 v9, v17                                  // temp store offset 1
_v_add_co_u32 v16, vcc, v2, v8                     // addrVgpr = D + index*bytes (lo)
_v_addc_co_u32 v17, vcc, v3, v9, vcc               // addrVgpr = D + index*bytes (hi)
v_accvgpr_read_b32 v[vgprValuC+14], acc47 // copy acc to vreg[62]
v_accvgpr_read_b32 v[vgprValuC+18], acc63 // copy acc to vreg[63]
s_nop 1                                            // 2 wait states required before reading vgpr

/* rC *= alpha batchElements=[(7, 0, 3, 0), (7, 1, 3, 0)] */
v_mul_f32 v[vgprValuC+14], s[sgprAlpha], v[vgprValuC+14] // *= alpha
v_mul_f32 v[vgprValuC+18], s[sgprAlpha], v[vgprValuC+18] // *= alpha
s_waitcnt vmcnt(0)                                 // wait C

/* apply mask, calc new C and issue writes */
_v_mac_f32 v[vgprValuC+14], v11, s[sgprBeta]       // finalSum = sum*alpha + C*beta
_global_store_b32 v[12:13], v14, off               // store D
_v_mac_f32 v[vgprValuC+18], v15, s[sgprBeta]       // finalSum = sum*alpha + C*beta
_global_store_b32 v[16:17], v18, off               // store D
s_nop 0                                            // 1 wait state required when next inst writes vgprs held by previous dwordx4 store inst
s_branch label_GW_End_32                           // jump to end
GW_B1_E1_31:

/* edge=1, allocate 8 sgpr. perBatchTmpS=4 perBatchMaskS=0 perElementMaskS=2 elementsPerBatch=2 */
/* optSingleColVgpr=0 optSharedColVgpr=0 optSGPRUsage=None optSrdIncForRow=0 */

/******************************************/
/* Global Write Alpha Beta Edge Batch #0 (d1,d0,vc1,vc0) = */
/*    (0,0,0,0:vw1); (0,1,0,0:vw1)        */
/******************************************/

/* calc coords, apply mask, and issue loads (if necessary) */
/* (d1,vc1,d0,vc0)=(0,0,0,0) */
GLOBAL_OFFSET_C 12, 0, 1, sgprWorkGroup2, 8
v_mov_b32 v8, v12                                  // temp store offset 0
v_mov_b32 v9, v13                                  // temp store offset 1
v_cmp_lt_u32 s[36:37], v0, s[sgprSizesFree+0]      // coord0 < size0
v_cmp_lt_u32 s[38:39], v1, s[sgprSizesFree+1]      // coord1 < size1
s_and_b64 s[40:41], s[36:37], s[38:39]             // in0 && in1
s_mov_b64 exec, s[40:41]                           // sgprs -> exec
_v_add_co_u32 v12, vcc, v4, v8                     // addrVgpr = C + index*bytes (lo)
_v_addc_co_u32 v13, vcc, v5, v9, vcc               // addrVgpr = C + index*bytes (hi)
_global_load_b32 v11, v[12:13], off, offset:0      // load C for beta calc
GLOBAL_OFFSET_D 12, 0, 1, sgprWorkGroup2, 8
v_mov_b32 v8, v12                                  // temp store offset 0
v_mov_b32 v9, v13                                  // temp store offset 1
v_cmp_lt_u32 s[36:37], v0, s[sgprSizesFree+0]      // coord0 < size0
v_cmp_lt_u32 s[38:39], v1, s[sgprSizesFree+1]      // coord1 < size1
s_and_b64 s[40:41], s[36:37], s[38:39]             // in0 && in1
s_mov_b64 exec, s[40:41]                           // sgprs -> exec
_v_add_co_u32 v12, vcc, v2, v8                     // addrVgpr = D + index*bytes (lo)
_v_addc_co_u32 v13, vcc, v3, v9, vcc               // addrVgpr = D + index*bytes (hi)
s_mov_b64 exec, -1                                 // full mask -1 -> exec
/* (d1,vc1,d0,vc0)=(0,0,1,0) */
_v_add_co_u32 v6, vcc, v0, 64                      // coord0.1: coord0 += d0*sg0*VW + vc0
GLOBAL_OFFSET_C 16, 6, 1, sgprWorkGroup2, 8
v_mov_b32 v8, v16                                  // temp store offset 0
v_mov_b32 v9, v17                                  // temp store offset 1
v_cmp_lt_u32 s[36:37], v6, s[sgprSizesFree+0]      // coord0 < size0
v_cmp_lt_u32 s[38:39], v1, s[sgprSizesFree+1]      // coord1 < size1
s_and_b64 s[42:43], s[36:37], s[38:39]             // in0 && in1
s_mov_b64 exec, s[42:43]                           // sgprs -> exec
_v_add_co_u32 v16, vcc, v4, v8                     // addrVgpr = C + index*bytes (lo)
_v_addc_co_u32 v17, vcc, v5, v9, vcc               // addrVgpr = C + index*bytes (hi)
_global_load_b32 v15, v[16:17], off, offset:0      // load C for beta calc
GLOBAL_OFFSET_D 16, 6, 1, sgprWorkGroup2, 8
v_mov_b32 v8, v16                                  // temp store offset 0
v_mov_b32 v9, v17                                  // temp store offset 1
v_cmp_lt_u32 s[36:37], v6, s[sgprSizesFree+0]      // coord0 < size0
v_cmp_lt_u32 s[38:39], v1, s[sgprSizesFree+1]      // coord1 < size1
s_and_b64 s[42:43], s[36:37], s[38:39]             // in0 && in1
s_mov_b64 exec, s[42:43]                           // sgprs -> exec
_v_add_co_u32 v16, vcc, v2, v8                     // addrVgpr = D + index*bytes (lo)
_v_addc_co_u32 v17, vcc, v3, v9, vcc               // addrVgpr = D + index*bytes (hi)
s_mov_b64 exec, -1                                 // full mask -1 -> exec
v_accvgpr_read_b32 v[vgprValuC+14], acc0 // copy acc to vreg[0]
v_accvgpr_read_b32 v[vgprValuC+18], acc16 // copy acc to vreg[1]
s_nop 1                                            // 2 wait states required before reading vgpr

/* rC *= alpha batchElements=[(0, 0, 0, 0), (0, 1, 0, 0)] */
v_mul_f32 v[vgprValuC+14], s[sgprAlpha], v[vgprValuC+14] // *= alpha
v_mul_f32 v[vgprValuC+18], s[sgprAlpha], v[vgprValuC+18] // *= alpha
s_waitcnt vmcnt(0)                                 // wait C

/* apply mask, calc new C and issue writes */
s_mov_b64 exec, s[40:41]                           // sgprs -> exec
_v_mac_f32 v[vgprValuC+14], v11, s[sgprBeta]       // finalSum = sum*alpha + C*beta
_global_store_b32 v[12:13], v14, off               // store D
s_mov_b64 exec, s[42:43]                           // sgprs -> exec
_v_mac_f32 v[vgprValuC+18], v15, s[sgprBeta]       // finalSum = sum*alpha + C*beta
_global_store_b32 v[16:17], v18, off               // store D
s_mov_b64 exec, -1                                 // full mask -> exec
s_nop 0                                            // 1 wait state required when next inst writes vgprs held by previous dwordx4 store inst
/* optSingleColVgpr=0 optSharedColVgpr=0 optSGPRUsage=None optSrdIncForRow=0 */

/******************************************/
/* Global Write Alpha Beta Edge Batch #1 (d1,d0,vc1,vc0) = */
/*    (0,0,1,0:vw1); (0,1,1,0:vw1)        */
/******************************************/

/* calc coords, apply mask, and issue loads (if necessary) */
/* (d1,vc1,d0,vc0)=(0,1,0,0) */
_v_add_co_u32 v1, vcc, v1, 1                       // coord1.1: coord1Vgpr += d1*sg1*VW + vc1
GLOBAL_OFFSET_C 12, 0, 1, sgprWorkGroup2, 8
v_mov_b32 v8, v12                                  // temp store offset 0
v_mov_b32 v9, v13                                  // temp store offset 1
v_cmp_lt_u32 s[36:37], v0, s[sgprSizesFree+0]      // coord0 < size0
v_cmp_lt_u32 s[38:39], v1, s[sgprSizesFree+1]      // coord1 < size1
s_and_b64 s[40:41], s[36:37], s[38:39]             // in0 && in1
s_mov_b64 exec, s[40:41]                           // sgprs -> exec
_v_add_co_u32 v12, vcc, v4, v8                     // addrVgpr = C + index*bytes (lo)
_v_addc_co_u32 v13, vcc, v5, v9, vcc               // addrVgpr = C + index*bytes (hi)
_global_load_b32 v11, v[12:13], off, offset:0      // load C for beta calc
GLOBAL_OFFSET_D 12, 0, 1, sgprWorkGroup2, 8
v_mov_b32 v8, v12                                  // temp store offset 0
v_mov_b32 v9, v13                                  // temp store offset 1
v_cmp_lt_u32 s[36:37], v0, s[sgprSizesFree+0]      // coord0 < size0
v_cmp_lt_u32 s[38:39], v1, s[sgprSizesFree+1]      // coord1 < size1
s_and_b64 s[40:41], s[36:37], s[38:39]             // in0 && in1
s_mov_b64 exec, s[40:41]                           // sgprs -> exec
_v_add_co_u32 v12, vcc, v2, v8                     // addrVgpr = D + index*bytes (lo)
_v_addc_co_u32 v13, vcc, v3, v9, vcc               // addrVgpr = D + index*bytes (hi)
s_mov_b64 exec, -1                                 // full mask -1 -> exec
/* (d1,vc1,d0,vc0)=(0,1,1,0) */
_v_add_co_u32 v6, vcc, v0, 64                      // coord0.1: coord0 += d0*sg0*VW + vc0
GLOBAL_OFFSET_C 16, 6, 1, sgprWorkGroup2, 8
v_mov_b32 v8, v16                                  // temp store offset 0
v_mov_b32 v9, v17                                  // temp store offset 1
v_cmp_lt_u32 s[36:37], v6, s[sgprSizesFree+0]      // coord0 < size0
v_cmp_lt_u32 s[38:39], v1, s[sgprSizesFree+1]      // coord1 < size1
s_and_b64 s[42:43], s[36:37], s[38:39]             // in0 && in1
s_mov_b64 exec, s[42:43]                           // sgprs -> exec
_v_add_co_u32 v16, vcc, v4, v8                     // addrVgpr = C + index*bytes (lo)
_v_addc_co_u32 v17, vcc, v5, v9, vcc               // addrVgpr = C + index*bytes (hi)
_global_load_b32 v15, v[16:17], off, offset:0      // load C for beta calc
GLOBAL_OFFSET_D 16, 6, 1, sgprWorkGroup2, 8
v_mov_b32 v8, v16                                  // temp store offset 0
v_mov_b32 v9, v17                                  // temp store offset 1
v_cmp_lt_u32 s[36:37], v6, s[sgprSizesFree+0]      // coord0 < size0
v_cmp_lt_u32 s[38:39], v1, s[sgprSizesFree+1]      // coord1 < size1
s_and_b64 s[42:43], s[36:37], s[38:39]             // in0 && in1
s_mov_b64 exec, s[42:43]                           // sgprs -> exec
_v_add_co_u32 v16, vcc, v2, v8                     // addrVgpr = D + index*bytes (lo)
_v_addc_co_u32 v17, vcc, v3, v9, vcc               // addrVgpr = D + index*bytes (hi)
s_mov_b64 exec, -1                                 // full mask -1 -> exec
v_accvgpr_read_b32 v[vgprValuC+14], acc1 // copy acc to vreg[2]
v_accvgpr_read_b32 v[vgprValuC+18], acc17 // copy acc to vreg[3]
s_nop 1                                            // 2 wait states required before reading vgpr

/* rC *= alpha batchElements=[(0, 0, 1, 0), (0, 1, 1, 0)] */
v_mul_f32 v[vgprValuC+14], s[sgprAlpha], v[vgprValuC+14] // *= alpha
v_mul_f32 v[vgprValuC+18], s[sgprAlpha], v[vgprValuC+18] // *= alpha
s_waitcnt vmcnt(0)                                 // wait C

/* apply mask, calc new C and issue writes */
s_mov_b64 exec, s[40:41]                           // sgprs -> exec
_v_mac_f32 v[vgprValuC+14], v11, s[sgprBeta]       // finalSum = sum*alpha + C*beta
_global_store_b32 v[12:13], v14, off               // store D
s_mov_b64 exec, s[42:43]                           // sgprs -> exec
_v_mac_f32 v[vgprValuC+18], v15, s[sgprBeta]       // finalSum = sum*alpha + C*beta
_global_store_b32 v[16:17], v18, off               // store D
s_mov_b64 exec, -1                                 // full mask -> exec
s_nop 0                                            // 1 wait state required when next inst writes vgprs held by previous dwordx4 store inst
/* optSingleColVgpr=0 optSharedColVgpr=0 optSGPRUsage=None optSrdIncForRow=0 */

/******************************************/
/* Global Write Alpha Beta Edge Batch #2 (d1,d0,vc1,vc0) = */
/*    (0,0,2,0:vw1); (0,1,2,0:vw1)        */
/******************************************/

/* calc coords, apply mask, and issue loads (if necessary) */
/* (d1,vc1,d0,vc0)=(0,2,0,0) */
_v_add_co_u32 v1, vcc, v1, 1                       // coord1.1: coord1Vgpr += d1*sg1*VW + vc1
GLOBAL_OFFSET_C 12, 0, 1, sgprWorkGroup2, 8
v_mov_b32 v8, v12                                  // temp store offset 0
v_mov_b32 v9, v13                                  // temp store offset 1
v_cmp_lt_u32 s[36:37], v0, s[sgprSizesFree+0]      // coord0 < size0
v_cmp_lt_u32 s[38:39], v1, s[sgprSizesFree+1]      // coord1 < size1
s_and_b64 s[40:41], s[36:37], s[38:39]             // in0 && in1
s_mov_b64 exec, s[40:41]                           // sgprs -> exec
_v_add_co_u32 v12, vcc, v4, v8                     // addrVgpr = C + index*bytes (lo)
_v_addc_co_u32 v13, vcc, v5, v9, vcc               // addrVgpr = C + index*bytes (hi)
_global_load_b32 v11, v[12:13], off, offset:0      // load C for beta calc
GLOBAL_OFFSET_D 12, 0, 1, sgprWorkGroup2, 8
v_mov_b32 v8, v12                                  // temp store offset 0
v_mov_b32 v9, v13                                  // temp store offset 1
v_cmp_lt_u32 s[36:37], v0, s[sgprSizesFree+0]      // coord0 < size0
v_cmp_lt_u32 s[38:39], v1, s[sgprSizesFree+1]      // coord1 < size1
s_and_b64 s[40:41], s[36:37], s[38:39]             // in0 && in1
s_mov_b64 exec, s[40:41]                           // sgprs -> exec
_v_add_co_u32 v12, vcc, v2, v8                     // addrVgpr = D + index*bytes (lo)
_v_addc_co_u32 v13, vcc, v3, v9, vcc               // addrVgpr = D + index*bytes (hi)
s_mov_b64 exec, -1                                 // full mask -1 -> exec
/* (d1,vc1,d0,vc0)=(0,2,1,0) */
_v_add_co_u32 v6, vcc, v0, 64                      // coord0.1: coord0 += d0*sg0*VW + vc0
GLOBAL_OFFSET_C 16, 6, 1, sgprWorkGroup2, 8
v_mov_b32 v8, v16                                  // temp store offset 0
v_mov_b32 v9, v17                                  // temp store offset 1
v_cmp_lt_u32 s[36:37], v6, s[sgprSizesFree+0]      // coord0 < size0
v_cmp_lt_u32 s[38:39], v1, s[sgprSizesFree+1]      // coord1 < size1
s_and_b64 s[42:43], s[36:37], s[38:39]             // in0 && in1
s_mov_b64 exec, s[42:43]                           // sgprs -> exec
_v_add_co_u32 v16, vcc, v4, v8                     // addrVgpr = C + index*bytes (lo)
_v_addc_co_u32 v17, vcc, v5, v9, vcc               // addrVgpr = C + index*bytes (hi)
_global_load_b32 v15, v[16:17], off, offset:0      // load C for beta calc
GLOBAL_OFFSET_D 16, 6, 1, sgprWorkGroup2, 8
v_mov_b32 v8, v16                                  // temp store offset 0
v_mov_b32 v9, v17                                  // temp store offset 1
v_cmp_lt_u32 s[36:37], v6, s[sgprSizesFree+0]      // coord0 < size0
v_cmp_lt_u32 s[38:39], v1, s[sgprSizesFree+1]      // coord1 < size1
s_and_b64 s[42:43], s[36:37], s[38:39]             // in0 && in1
s_mov_b64 exec, s[42:43]                           // sgprs -> exec
_v_add_co_u32 v16, vcc, v2, v8                     // addrVgpr = D + index*bytes (lo)
_v_addc_co_u32 v17, vcc, v3, v9, vcc               // addrVgpr = D + index*bytes (hi)
s_mov_b64 exec, -1                                 // full mask -1 -> exec
v_accvgpr_read_b32 v[vgprValuC+14], acc2 // copy acc to vreg[4]
v_accvgpr_read_b32 v[vgprValuC+18], acc18 // copy acc to vreg[5]
s_nop 1                                            // 2 wait states required before reading vgpr

/* rC *= alpha batchElements=[(0, 0, 2, 0), (0, 1, 2, 0)] */
v_mul_f32 v[vgprValuC+14], s[sgprAlpha], v[vgprValuC+14] // *= alpha
v_mul_f32 v[vgprValuC+18], s[sgprAlpha], v[vgprValuC+18] // *= alpha
s_waitcnt vmcnt(0)                                 // wait C

/* apply mask, calc new C and issue writes */
s_mov_b64 exec, s[40:41]                           // sgprs -> exec
_v_mac_f32 v[vgprValuC+14], v11, s[sgprBeta]       // finalSum = sum*alpha + C*beta
_global_store_b32 v[12:13], v14, off               // store D
s_mov_b64 exec, s[42:43]                           // sgprs -> exec
_v_mac_f32 v[vgprValuC+18], v15, s[sgprBeta]       // finalSum = sum*alpha + C*beta
_global_store_b32 v[16:17], v18, off               // store D
s_mov_b64 exec, -1                                 // full mask -> exec
s_nop 0                                            // 1 wait state required when next inst writes vgprs held by previous dwordx4 store inst
/* optSingleColVgpr=0 optSharedColVgpr=0 optSGPRUsage=None optSrdIncForRow=0 */

/******************************************/
/* Global Write Alpha Beta Edge Batch #3 (d1,d0,vc1,vc0) = */
/*    (0,0,3,0:vw1); (0,1,3,0:vw1)        */
/******************************************/

/* calc coords, apply mask, and issue loads (if necessary) */
/* (d1,vc1,d0,vc0)=(0,3,0,0) */
_v_add_co_u32 v1, vcc, v1, 1                       // coord1.1: coord1Vgpr += d1*sg1*VW + vc1
GLOBAL_OFFSET_C 12, 0, 1, sgprWorkGroup2, 8
v_mov_b32 v8, v12                                  // temp store offset 0
v_mov_b32 v9, v13                                  // temp store offset 1
v_cmp_lt_u32 s[36:37], v0, s[sgprSizesFree+0]      // coord0 < size0
v_cmp_lt_u32 s[38:39], v1, s[sgprSizesFree+1]      // coord1 < size1
s_and_b64 s[40:41], s[36:37], s[38:39]             // in0 && in1
s_mov_b64 exec, s[40:41]                           // sgprs -> exec
_v_add_co_u32 v12, vcc, v4, v8                     // addrVgpr = C + index*bytes (lo)
_v_addc_co_u32 v13, vcc, v5, v9, vcc               // addrVgpr = C + index*bytes (hi)
_global_load_b32 v11, v[12:13], off, offset:0      // load C for beta calc
GLOBAL_OFFSET_D 12, 0, 1, sgprWorkGroup2, 8
v_mov_b32 v8, v12                                  // temp store offset 0
v_mov_b32 v9, v13                                  // temp store offset 1
v_cmp_lt_u32 s[36:37], v0, s[sgprSizesFree+0]      // coord0 < size0
v_cmp_lt_u32 s[38:39], v1, s[sgprSizesFree+1]      // coord1 < size1
s_and_b64 s[40:41], s[36:37], s[38:39]             // in0 && in1
s_mov_b64 exec, s[40:41]                           // sgprs -> exec
_v_add_co_u32 v12, vcc, v2, v8                     // addrVgpr = D + index*bytes (lo)
_v_addc_co_u32 v13, vcc, v3, v9, vcc               // addrVgpr = D + index*bytes (hi)
s_mov_b64 exec, -1                                 // full mask -1 -> exec
/* (d1,vc1,d0,vc0)=(0,3,1,0) */
_v_add_co_u32 v6, vcc, v0, 64                      // coord0.1: coord0 += d0*sg0*VW + vc0
GLOBAL_OFFSET_C 16, 6, 1, sgprWorkGroup2, 8
v_mov_b32 v8, v16                                  // temp store offset 0
v_mov_b32 v9, v17                                  // temp store offset 1
v_cmp_lt_u32 s[36:37], v6, s[sgprSizesFree+0]      // coord0 < size0
v_cmp_lt_u32 s[38:39], v1, s[sgprSizesFree+1]      // coord1 < size1
s_and_b64 s[42:43], s[36:37], s[38:39]             // in0 && in1
s_mov_b64 exec, s[42:43]                           // sgprs -> exec
_v_add_co_u32 v16, vcc, v4, v8                     // addrVgpr = C + index*bytes (lo)
_v_addc_co_u32 v17, vcc, v5, v9, vcc               // addrVgpr = C + index*bytes (hi)
_global_load_b32 v15, v[16:17], off, offset:0      // load C for beta calc
GLOBAL_OFFSET_D 16, 6, 1, sgprWorkGroup2, 8
v_mov_b32 v8, v16                                  // temp store offset 0
v_mov_b32 v9, v17                                  // temp store offset 1
v_cmp_lt_u32 s[36:37], v6, s[sgprSizesFree+0]      // coord0 < size0
v_cmp_lt_u32 s[38:39], v1, s[sgprSizesFree+1]      // coord1 < size1
s_and_b64 s[42:43], s[36:37], s[38:39]             // in0 && in1
s_mov_b64 exec, s[42:43]                           // sgprs -> exec
_v_add_co_u32 v16, vcc, v2, v8                     // addrVgpr = D + index*bytes (lo)
_v_addc_co_u32 v17, vcc, v3, v9, vcc               // addrVgpr = D + index*bytes (hi)
s_mov_b64 exec, -1                                 // full mask -1 -> exec
v_accvgpr_read_b32 v[vgprValuC+14], acc3 // copy acc to vreg[6]
v_accvgpr_read_b32 v[vgprValuC+18], acc19 // copy acc to vreg[7]
s_nop 1                                            // 2 wait states required before reading vgpr

/* rC *= alpha batchElements=[(0, 0, 3, 0), (0, 1, 3, 0)] */
v_mul_f32 v[vgprValuC+14], s[sgprAlpha], v[vgprValuC+14] // *= alpha
v_mul_f32 v[vgprValuC+18], s[sgprAlpha], v[vgprValuC+18] // *= alpha
s_waitcnt vmcnt(0)                                 // wait C

/* apply mask, calc new C and issue writes */
s_mov_b64 exec, s[40:41]                           // sgprs -> exec
_v_mac_f32 v[vgprValuC+14], v11, s[sgprBeta]       // finalSum = sum*alpha + C*beta
_global_store_b32 v[12:13], v14, off               // store D
s_mov_b64 exec, s[42:43]                           // sgprs -> exec
_v_mac_f32 v[vgprValuC+18], v15, s[sgprBeta]       // finalSum = sum*alpha + C*beta
_global_store_b32 v[16:17], v18, off               // store D
s_mov_b64 exec, -1                                 // full mask -> exec
s_nop 0                                            // 1 wait state required when next inst writes vgprs held by previous dwordx4 store inst
/* optSingleColVgpr=0 optSharedColVgpr=0 optSGPRUsage=None optSrdIncForRow=0 */

/******************************************/
/* Global Write Alpha Beta Edge Batch #4 (d1,d0,vc1,vc0) = */
/*    (1,0,0,0:vw1); (1,1,0,0:vw1)        */
/******************************************/

/* calc coords, apply mask, and issue loads (if necessary) */
/* (d1,vc1,d0,vc0)=(1,0,0,0) */
_v_add_co_u32 v1, vcc, v1, 5                       // coord1.1: coord1Vgpr += d1*sg1*VW + vc1
GLOBAL_OFFSET_C 12, 0, 1, sgprWorkGroup2, 8
v_mov_b32 v8, v12                                  // temp store offset 0
v_mov_b32 v9, v13                                  // temp store offset 1
v_cmp_lt_u32 s[36:37], v0, s[sgprSizesFree+0]      // coord0 < size0
v_cmp_lt_u32 s[38:39], v1, s[sgprSizesFree+1]      // coord1 < size1
s_and_b64 s[40:41], s[36:37], s[38:39]             // in0 && in1
s_mov_b64 exec, s[40:41]                           // sgprs -> exec
_v_add_co_u32 v12, vcc, v4, v8                     // addrVgpr = C + index*bytes (lo)
_v_addc_co_u32 v13, vcc, v5, v9, vcc               // addrVgpr = C + index*bytes (hi)
_global_load_b32 v11, v[12:13], off, offset:0      // load C for beta calc
GLOBAL_OFFSET_D 12, 0, 1, sgprWorkGroup2, 8
v_mov_b32 v8, v12                                  // temp store offset 0
v_mov_b32 v9, v13                                  // temp store offset 1
v_cmp_lt_u32 s[36:37], v0, s[sgprSizesFree+0]      // coord0 < size0
v_cmp_lt_u32 s[38:39], v1, s[sgprSizesFree+1]      // coord1 < size1
s_and_b64 s[40:41], s[36:37], s[38:39]             // in0 && in1
s_mov_b64 exec, s[40:41]                           // sgprs -> exec
_v_add_co_u32 v12, vcc, v2, v8                     // addrVgpr = D + index*bytes (lo)
_v_addc_co_u32 v13, vcc, v3, v9, vcc               // addrVgpr = D + index*bytes (hi)
s_mov_b64 exec, -1                                 // full mask -1 -> exec
/* (d1,vc1,d0,vc0)=(1,0,1,0) */
_v_add_co_u32 v6, vcc, v0, 64                      // coord0.1: coord0 += d0*sg0*VW + vc0
GLOBAL_OFFSET_C 16, 6, 1, sgprWorkGroup2, 8
v_mov_b32 v8, v16                                  // temp store offset 0
v_mov_b32 v9, v17                                  // temp store offset 1
v_cmp_lt_u32 s[36:37], v6, s[sgprSizesFree+0]      // coord0 < size0
v_cmp_lt_u32 s[38:39], v1, s[sgprSizesFree+1]      // coord1 < size1
s_and_b64 s[42:43], s[36:37], s[38:39]             // in0 && in1
s_mov_b64 exec, s[42:43]                           // sgprs -> exec
_v_add_co_u32 v16, vcc, v4, v8                     // addrVgpr = C + index*bytes (lo)
_v_addc_co_u32 v17, vcc, v5, v9, vcc               // addrVgpr = C + index*bytes (hi)
_global_load_b32 v15, v[16:17], off, offset:0      // load C for beta calc
GLOBAL_OFFSET_D 16, 6, 1, sgprWorkGroup2, 8
v_mov_b32 v8, v16                                  // temp store offset 0
v_mov_b32 v9, v17                                  // temp store offset 1
v_cmp_lt_u32 s[36:37], v6, s[sgprSizesFree+0]      // coord0 < size0
v_cmp_lt_u32 s[38:39], v1, s[sgprSizesFree+1]      // coord1 < size1
s_and_b64 s[42:43], s[36:37], s[38:39]             // in0 && in1
s_mov_b64 exec, s[42:43]                           // sgprs -> exec
_v_add_co_u32 v16, vcc, v2, v8                     // addrVgpr = D + index*bytes (lo)
_v_addc_co_u32 v17, vcc, v3, v9, vcc               // addrVgpr = D + index*bytes (hi)
s_mov_b64 exec, -1                                 // full mask -1 -> exec
v_accvgpr_read_b32 v[vgprValuC+14], acc4 // copy acc to vreg[8]
v_accvgpr_read_b32 v[vgprValuC+18], acc20 // copy acc to vreg[9]
s_nop 1                                            // 2 wait states required before reading vgpr

/* rC *= alpha batchElements=[(1, 0, 0, 0), (1, 1, 0, 0)] */
v_mul_f32 v[vgprValuC+14], s[sgprAlpha], v[vgprValuC+14] // *= alpha
v_mul_f32 v[vgprValuC+18], s[sgprAlpha], v[vgprValuC+18] // *= alpha
s_waitcnt vmcnt(0)                                 // wait C

/* apply mask, calc new C and issue writes */
s_mov_b64 exec, s[40:41]                           // sgprs -> exec
_v_mac_f32 v[vgprValuC+14], v11, s[sgprBeta]       // finalSum = sum*alpha + C*beta
_global_store_b32 v[12:13], v14, off               // store D
s_mov_b64 exec, s[42:43]                           // sgprs -> exec
_v_mac_f32 v[vgprValuC+18], v15, s[sgprBeta]       // finalSum = sum*alpha + C*beta
_global_store_b32 v[16:17], v18, off               // store D
s_mov_b64 exec, -1                                 // full mask -> exec
s_nop 0                                            // 1 wait state required when next inst writes vgprs held by previous dwordx4 store inst
/* optSingleColVgpr=0 optSharedColVgpr=0 optSGPRUsage=None optSrdIncForRow=0 */

/******************************************/
/* Global Write Alpha Beta Edge Batch #5 (d1,d0,vc1,vc0) = */
/*    (1,0,1,0:vw1); (1,1,1,0:vw1)        */
/******************************************/

/* calc coords, apply mask, and issue loads (if necessary) */
/* (d1,vc1,d0,vc0)=(1,1,0,0) */
_v_add_co_u32 v1, vcc, v1, 1                       // coord1.1: coord1Vgpr += d1*sg1*VW + vc1
GLOBAL_OFFSET_C 12, 0, 1, sgprWorkGroup2, 8
v_mov_b32 v8, v12                                  // temp store offset 0
v_mov_b32 v9, v13                                  // temp store offset 1
v_cmp_lt_u32 s[36:37], v0, s[sgprSizesFree+0]      // coord0 < size0
v_cmp_lt_u32 s[38:39], v1, s[sgprSizesFree+1]      // coord1 < size1
s_and_b64 s[40:41], s[36:37], s[38:39]             // in0 && in1
s_mov_b64 exec, s[40:41]                           // sgprs -> exec
_v_add_co_u32 v12, vcc, v4, v8                     // addrVgpr = C + index*bytes (lo)
_v_addc_co_u32 v13, vcc, v5, v9, vcc               // addrVgpr = C + index*bytes (hi)
_global_load_b32 v11, v[12:13], off, offset:0      // load C for beta calc
GLOBAL_OFFSET_D 12, 0, 1, sgprWorkGroup2, 8
v_mov_b32 v8, v12                                  // temp store offset 0
v_mov_b32 v9, v13                                  // temp store offset 1
v_cmp_lt_u32 s[36:37], v0, s[sgprSizesFree+0]      // coord0 < size0
v_cmp_lt_u32 s[38:39], v1, s[sgprSizesFree+1]      // coord1 < size1
s_and_b64 s[40:41], s[36:37], s[38:39]             // in0 && in1
s_mov_b64 exec, s[40:41]                           // sgprs -> exec
_v_add_co_u32 v12, vcc, v2, v8                     // addrVgpr = D + index*bytes (lo)
_v_addc_co_u32 v13, vcc, v3, v9, vcc               // addrVgpr = D + index*bytes (hi)
s_mov_b64 exec, -1                                 // full mask -1 -> exec
/* (d1,vc1,d0,vc0)=(1,1,1,0) */
_v_add_co_u32 v6, vcc, v0, 64                      // coord0.1: coord0 += d0*sg0*VW + vc0
GLOBAL_OFFSET_C 16, 6, 1, sgprWorkGroup2, 8
v_mov_b32 v8, v16                                  // temp store offset 0
v_mov_b32 v9, v17                                  // temp store offset 1
v_cmp_lt_u32 s[36:37], v6, s[sgprSizesFree+0]      // coord0 < size0
v_cmp_lt_u32 s[38:39], v1, s[sgprSizesFree+1]      // coord1 < size1
s_and_b64 s[42:43], s[36:37], s[38:39]             // in0 && in1
s_mov_b64 exec, s[42:43]                           // sgprs -> exec
_v_add_co_u32 v16, vcc, v4, v8                     // addrVgpr = C + index*bytes (lo)
_v_addc_co_u32 v17, vcc, v5, v9, vcc               // addrVgpr = C + index*bytes (hi)
_global_load_b32 v15, v[16:17], off, offset:0      // load C for beta calc
GLOBAL_OFFSET_D 16, 6, 1, sgprWorkGroup2, 8
v_mov_b32 v8, v16                                  // temp store offset 0
v_mov_b32 v9, v17                                  // temp store offset 1
v_cmp_lt_u32 s[36:37], v6, s[sgprSizesFree+0]      // coord0 < size0
v_cmp_lt_u32 s[38:39], v1, s[sgprSizesFree+1]      // coord1 < size1
s_and_b64 s[42:43], s[36:37], s[38:39]             // in0 && in1
s_mov_b64 exec, s[42:43]                           // sgprs -> exec
_v_add_co_u32 v16, vcc, v2, v8                     // addrVgpr = D + index*bytes (lo)
_v_addc_co_u32 v17, vcc, v3, v9, vcc               // addrVgpr = D + index*bytes (hi)
s_mov_b64 exec, -1                                 // full mask -1 -> exec
v_accvgpr_read_b32 v[vgprValuC+14], acc5 // copy acc to vreg[10]
v_accvgpr_read_b32 v[vgprValuC+18], acc21 // copy acc to vreg[11]
s_nop 1                                            // 2 wait states required before reading vgpr

/* rC *= alpha batchElements=[(1, 0, 1, 0), (1, 1, 1, 0)] */
v_mul_f32 v[vgprValuC+14], s[sgprAlpha], v[vgprValuC+14] // *= alpha
v_mul_f32 v[vgprValuC+18], s[sgprAlpha], v[vgprValuC+18] // *= alpha
s_waitcnt vmcnt(0)                                 // wait C

/* apply mask, calc new C and issue writes */
s_mov_b64 exec, s[40:41]                           // sgprs -> exec
_v_mac_f32 v[vgprValuC+14], v11, s[sgprBeta]       // finalSum = sum*alpha + C*beta
_global_store_b32 v[12:13], v14, off               // store D
s_mov_b64 exec, s[42:43]                           // sgprs -> exec
_v_mac_f32 v[vgprValuC+18], v15, s[sgprBeta]       // finalSum = sum*alpha + C*beta
_global_store_b32 v[16:17], v18, off               // store D
s_mov_b64 exec, -1                                 // full mask -> exec
s_nop 0                                            // 1 wait state required when next inst writes vgprs held by previous dwordx4 store inst
/* optSingleColVgpr=0 optSharedColVgpr=0 optSGPRUsage=None optSrdIncForRow=0 */

/******************************************/
/* Global Write Alpha Beta Edge Batch #6 (d1,d0,vc1,vc0) = */
/*    (1,0,2,0:vw1); (1,1,2,0:vw1)        */
/******************************************/

/* calc coords, apply mask, and issue loads (if necessary) */
/* (d1,vc1,d0,vc0)=(1,2,0,0) */
_v_add_co_u32 v1, vcc, v1, 1                       // coord1.1: coord1Vgpr += d1*sg1*VW + vc1
GLOBAL_OFFSET_C 12, 0, 1, sgprWorkGroup2, 8
v_mov_b32 v8, v12                                  // temp store offset 0
v_mov_b32 v9, v13                                  // temp store offset 1
v_cmp_lt_u32 s[36:37], v0, s[sgprSizesFree+0]      // coord0 < size0
v_cmp_lt_u32 s[38:39], v1, s[sgprSizesFree+1]      // coord1 < size1
s_and_b64 s[40:41], s[36:37], s[38:39]             // in0 && in1
s_mov_b64 exec, s[40:41]                           // sgprs -> exec
_v_add_co_u32 v12, vcc, v4, v8                     // addrVgpr = C + index*bytes (lo)
_v_addc_co_u32 v13, vcc, v5, v9, vcc               // addrVgpr = C + index*bytes (hi)
_global_load_b32 v11, v[12:13], off, offset:0      // load C for beta calc
GLOBAL_OFFSET_D 12, 0, 1, sgprWorkGroup2, 8
v_mov_b32 v8, v12                                  // temp store offset 0
v_mov_b32 v9, v13                                  // temp store offset 1
v_cmp_lt_u32 s[36:37], v0, s[sgprSizesFree+0]      // coord0 < size0
v_cmp_lt_u32 s[38:39], v1, s[sgprSizesFree+1]      // coord1 < size1
s_and_b64 s[40:41], s[36:37], s[38:39]             // in0 && in1
s_mov_b64 exec, s[40:41]                           // sgprs -> exec
_v_add_co_u32 v12, vcc, v2, v8                     // addrVgpr = D + index*bytes (lo)
_v_addc_co_u32 v13, vcc, v3, v9, vcc               // addrVgpr = D + index*bytes (hi)
s_mov_b64 exec, -1                                 // full mask -1 -> exec
/* (d1,vc1,d0,vc0)=(1,2,1,0) */
_v_add_co_u32 v6, vcc, v0, 64                      // coord0.1: coord0 += d0*sg0*VW + vc0
GLOBAL_OFFSET_C 16, 6, 1, sgprWorkGroup2, 8
v_mov_b32 v8, v16                                  // temp store offset 0
v_mov_b32 v9, v17                                  // temp store offset 1
v_cmp_lt_u32 s[36:37], v6, s[sgprSizesFree+0]      // coord0 < size0
v_cmp_lt_u32 s[38:39], v1, s[sgprSizesFree+1]      // coord1 < size1
s_and_b64 s[42:43], s[36:37], s[38:39]             // in0 && in1
s_mov_b64 exec, s[42:43]                           // sgprs -> exec
_v_add_co_u32 v16, vcc, v4, v8                     // addrVgpr = C + index*bytes (lo)
_v_addc_co_u32 v17, vcc, v5, v9, vcc               // addrVgpr = C + index*bytes (hi)
_global_load_b32 v15, v[16:17], off, offset:0      // load C for beta calc
GLOBAL_OFFSET_D 16, 6, 1, sgprWorkGroup2, 8
v_mov_b32 v8, v16                                  // temp store offset 0
v_mov_b32 v9, v17                                  // temp store offset 1
v_cmp_lt_u32 s[36:37], v6, s[sgprSizesFree+0]      // coord0 < size0
v_cmp_lt_u32 s[38:39], v1, s[sgprSizesFree+1]      // coord1 < size1
s_and_b64 s[42:43], s[36:37], s[38:39]             // in0 && in1
s_mov_b64 exec, s[42:43]                           // sgprs -> exec
_v_add_co_u32 v16, vcc, v2, v8                     // addrVgpr = D + index*bytes (lo)
_v_addc_co_u32 v17, vcc, v3, v9, vcc               // addrVgpr = D + index*bytes (hi)
s_mov_b64 exec, -1                                 // full mask -1 -> exec
v_accvgpr_read_b32 v[vgprValuC+14], acc6 // copy acc to vreg[12]
v_accvgpr_read_b32 v[vgprValuC+18], acc22 // copy acc to vreg[13]
s_nop 1                                            // 2 wait states required before reading vgpr

/* rC *= alpha batchElements=[(1, 0, 2, 0), (1, 1, 2, 0)] */
v_mul_f32 v[vgprValuC+14], s[sgprAlpha], v[vgprValuC+14] // *= alpha
v_mul_f32 v[vgprValuC+18], s[sgprAlpha], v[vgprValuC+18] // *= alpha
s_waitcnt vmcnt(0)                                 // wait C

/* apply mask, calc new C and issue writes */
s_mov_b64 exec, s[40:41]                           // sgprs -> exec
_v_mac_f32 v[vgprValuC+14], v11, s[sgprBeta]       // finalSum = sum*alpha + C*beta
_global_store_b32 v[12:13], v14, off               // store D
s_mov_b64 exec, s[42:43]                           // sgprs -> exec
_v_mac_f32 v[vgprValuC+18], v15, s[sgprBeta]       // finalSum = sum*alpha + C*beta
_global_store_b32 v[16:17], v18, off               // store D
s_mov_b64 exec, -1                                 // full mask -> exec
s_nop 0                                            // 1 wait state required when next inst writes vgprs held by previous dwordx4 store inst
/* optSingleColVgpr=0 optSharedColVgpr=0 optSGPRUsage=None optSrdIncForRow=0 */

/******************************************/
/* Global Write Alpha Beta Edge Batch #7 (d1,d0,vc1,vc0) = */
/*    (1,0,3,0:vw1); (1,1,3,0:vw1)        */
/******************************************/

/* calc coords, apply mask, and issue loads (if necessary) */
/* (d1,vc1,d0,vc0)=(1,3,0,0) */
_v_add_co_u32 v1, vcc, v1, 1                       // coord1.1: coord1Vgpr += d1*sg1*VW + vc1
GLOBAL_OFFSET_C 12, 0, 1, sgprWorkGroup2, 8
v_mov_b32 v8, v12                                  // temp store offset 0
v_mov_b32 v9, v13                                  // temp store offset 1
v_cmp_lt_u32 s[36:37], v0, s[sgprSizesFree+0]      // coord0 < size0
v_cmp_lt_u32 s[38:39], v1, s[sgprSizesFree+1]      // coord1 < size1
s_and_b64 s[40:41], s[36:37], s[38:39]             // in0 && in1
s_mov_b64 exec, s[40:41]                           // sgprs -> exec
_v_add_co_u32 v12, vcc, v4, v8                     // addrVgpr = C + index*bytes (lo)
_v_addc_co_u32 v13, vcc, v5, v9, vcc               // addrVgpr = C + index*bytes (hi)
_global_load_b32 v11, v[12:13], off, offset:0      // load C for beta calc
GLOBAL_OFFSET_D 12, 0, 1, sgprWorkGroup2, 8
v_mov_b32 v8, v12                                  // temp store offset 0
v_mov_b32 v9, v13                                  // temp store offset 1
v_cmp_lt_u32 s[36:37], v0, s[sgprSizesFree+0]      // coord0 < size0
v_cmp_lt_u32 s[38:39], v1, s[sgprSizesFree+1]      // coord1 < size1
s_and_b64 s[40:41], s[36:37], s[38:39]             // in0 && in1
s_mov_b64 exec, s[40:41]                           // sgprs -> exec
_v_add_co_u32 v12, vcc, v2, v8                     // addrVgpr = D + index*bytes (lo)
_v_addc_co_u32 v13, vcc, v3, v9, vcc               // addrVgpr = D + index*bytes (hi)
s_mov_b64 exec, -1                                 // full mask -1 -> exec
/* (d1,vc1,d0,vc0)=(1,3,1,0) */
_v_add_co_u32 v6, vcc, v0, 64                      // coord0.1: coord0 += d0*sg0*VW + vc0
GLOBAL_OFFSET_C 16, 6, 1, sgprWorkGroup2, 8
v_mov_b32 v8, v16                                  // temp store offset 0
v_mov_b32 v9, v17                                  // temp store offset 1
v_cmp_lt_u32 s[36:37], v6, s[sgprSizesFree+0]      // coord0 < size0
v_cmp_lt_u32 s[38:39], v1, s[sgprSizesFree+1]      // coord1 < size1
s_and_b64 s[42:43], s[36:37], s[38:39]             // in0 && in1
s_mov_b64 exec, s[42:43]                           // sgprs -> exec
_v_add_co_u32 v16, vcc, v4, v8                     // addrVgpr = C + index*bytes (lo)
_v_addc_co_u32 v17, vcc, v5, v9, vcc               // addrVgpr = C + index*bytes (hi)
_global_load_b32 v15, v[16:17], off, offset:0      // load C for beta calc
GLOBAL_OFFSET_D 16, 6, 1, sgprWorkGroup2, 8
v_mov_b32 v8, v16                                  // temp store offset 0
v_mov_b32 v9, v17                                  // temp store offset 1
v_cmp_lt_u32 s[36:37], v6, s[sgprSizesFree+0]      // coord0 < size0
v_cmp_lt_u32 s[38:39], v1, s[sgprSizesFree+1]      // coord1 < size1
s_and_b64 s[42:43], s[36:37], s[38:39]             // in0 && in1
s_mov_b64 exec, s[42:43]                           // sgprs -> exec
_v_add_co_u32 v16, vcc, v2, v8                     // addrVgpr = D + index*bytes (lo)
_v_addc_co_u32 v17, vcc, v3, v9, vcc               // addrVgpr = D + index*bytes (hi)
s_mov_b64 exec, -1                                 // full mask -1 -> exec
v_accvgpr_read_b32 v[vgprValuC+14], acc7 // copy acc to vreg[14]
v_accvgpr_read_b32 v[vgprValuC+18], acc23 // copy acc to vreg[15]
s_nop 1                                            // 2 wait states required before reading vgpr

/* rC *= alpha batchElements=[(1, 0, 3, 0), (1, 1, 3, 0)] */
v_mul_f32 v[vgprValuC+14], s[sgprAlpha], v[vgprValuC+14] // *= alpha
v_mul_f32 v[vgprValuC+18], s[sgprAlpha], v[vgprValuC+18] // *= alpha
s_waitcnt vmcnt(0)                                 // wait C

/* apply mask, calc new C and issue writes */
s_mov_b64 exec, s[40:41]                           // sgprs -> exec
_v_mac_f32 v[vgprValuC+14], v11, s[sgprBeta]       // finalSum = sum*alpha + C*beta
_global_store_b32 v[12:13], v14, off               // store D
s_mov_b64 exec, s[42:43]                           // sgprs -> exec
_v_mac_f32 v[vgprValuC+18], v15, s[sgprBeta]       // finalSum = sum*alpha + C*beta
_global_store_b32 v[16:17], v18, off               // store D
s_mov_b64 exec, -1                                 // full mask -> exec
s_nop 0                                            // 1 wait state required when next inst writes vgprs held by previous dwordx4 store inst
/* optSingleColVgpr=0 optSharedColVgpr=0 optSGPRUsage=None optSrdIncForRow=0 */

/******************************************/
/* Global Write Alpha Beta Edge Batch #8 (d1,d0,vc1,vc0) = */
/*    (2,0,0,0:vw1); (2,1,0,0:vw1)        */
/******************************************/

/* calc coords, apply mask, and issue loads (if necessary) */
/* (d1,vc1,d0,vc0)=(2,0,0,0) */
_v_add_co_u32 v1, vcc, v1, 5                       // coord1.1: coord1Vgpr += d1*sg1*VW + vc1
GLOBAL_OFFSET_C 12, 0, 1, sgprWorkGroup2, 8
v_mov_b32 v8, v12                                  // temp store offset 0
v_mov_b32 v9, v13                                  // temp store offset 1
v_cmp_lt_u32 s[36:37], v0, s[sgprSizesFree+0]      // coord0 < size0
v_cmp_lt_u32 s[38:39], v1, s[sgprSizesFree+1]      // coord1 < size1
s_and_b64 s[40:41], s[36:37], s[38:39]             // in0 && in1
s_mov_b64 exec, s[40:41]                           // sgprs -> exec
_v_add_co_u32 v12, vcc, v4, v8                     // addrVgpr = C + index*bytes (lo)
_v_addc_co_u32 v13, vcc, v5, v9, vcc               // addrVgpr = C + index*bytes (hi)
_global_load_b32 v11, v[12:13], off, offset:0      // load C for beta calc
GLOBAL_OFFSET_D 12, 0, 1, sgprWorkGroup2, 8
v_mov_b32 v8, v12                                  // temp store offset 0
v_mov_b32 v9, v13                                  // temp store offset 1
v_cmp_lt_u32 s[36:37], v0, s[sgprSizesFree+0]      // coord0 < size0
v_cmp_lt_u32 s[38:39], v1, s[sgprSizesFree+1]      // coord1 < size1
s_and_b64 s[40:41], s[36:37], s[38:39]             // in0 && in1
s_mov_b64 exec, s[40:41]                           // sgprs -> exec
_v_add_co_u32 v12, vcc, v2, v8                     // addrVgpr = D + index*bytes (lo)
_v_addc_co_u32 v13, vcc, v3, v9, vcc               // addrVgpr = D + index*bytes (hi)
s_mov_b64 exec, -1                                 // full mask -1 -> exec
/* (d1,vc1,d0,vc0)=(2,0,1,0) */
_v_add_co_u32 v6, vcc, v0, 64                      // coord0.1: coord0 += d0*sg0*VW + vc0
GLOBAL_OFFSET_C 16, 6, 1, sgprWorkGroup2, 8
v_mov_b32 v8, v16                                  // temp store offset 0
v_mov_b32 v9, v17                                  // temp store offset 1
v_cmp_lt_u32 s[36:37], v6, s[sgprSizesFree+0]      // coord0 < size0
v_cmp_lt_u32 s[38:39], v1, s[sgprSizesFree+1]      // coord1 < size1
s_and_b64 s[42:43], s[36:37], s[38:39]             // in0 && in1
s_mov_b64 exec, s[42:43]                           // sgprs -> exec
_v_add_co_u32 v16, vcc, v4, v8                     // addrVgpr = C + index*bytes (lo)
_v_addc_co_u32 v17, vcc, v5, v9, vcc               // addrVgpr = C + index*bytes (hi)
_global_load_b32 v15, v[16:17], off, offset:0      // load C for beta calc
GLOBAL_OFFSET_D 16, 6, 1, sgprWorkGroup2, 8
v_mov_b32 v8, v16                                  // temp store offset 0
v_mov_b32 v9, v17                                  // temp store offset 1
v_cmp_lt_u32 s[36:37], v6, s[sgprSizesFree+0]      // coord0 < size0
v_cmp_lt_u32 s[38:39], v1, s[sgprSizesFree+1]      // coord1 < size1
s_and_b64 s[42:43], s[36:37], s[38:39]             // in0 && in1
s_mov_b64 exec, s[42:43]                           // sgprs -> exec
_v_add_co_u32 v16, vcc, v2, v8                     // addrVgpr = D + index*bytes (lo)
_v_addc_co_u32 v17, vcc, v3, v9, vcc               // addrVgpr = D + index*bytes (hi)
s_mov_b64 exec, -1                                 // full mask -1 -> exec
v_accvgpr_read_b32 v[vgprValuC+14], acc8 // copy acc to vreg[16]
v_accvgpr_read_b32 v[vgprValuC+18], acc24 // copy acc to vreg[17]
s_nop 1                                            // 2 wait states required before reading vgpr

/* rC *= alpha batchElements=[(2, 0, 0, 0), (2, 1, 0, 0)] */
v_mul_f32 v[vgprValuC+14], s[sgprAlpha], v[vgprValuC+14] // *= alpha
v_mul_f32 v[vgprValuC+18], s[sgprAlpha], v[vgprValuC+18] // *= alpha
s_waitcnt vmcnt(0)                                 // wait C

/* apply mask, calc new C and issue writes */
s_mov_b64 exec, s[40:41]                           // sgprs -> exec
_v_mac_f32 v[vgprValuC+14], v11, s[sgprBeta]       // finalSum = sum*alpha + C*beta
_global_store_b32 v[12:13], v14, off               // store D
s_mov_b64 exec, s[42:43]                           // sgprs -> exec
_v_mac_f32 v[vgprValuC+18], v15, s[sgprBeta]       // finalSum = sum*alpha + C*beta
_global_store_b32 v[16:17], v18, off               // store D
s_mov_b64 exec, -1                                 // full mask -> exec
s_nop 0                                            // 1 wait state required when next inst writes vgprs held by previous dwordx4 store inst
/* optSingleColVgpr=0 optSharedColVgpr=0 optSGPRUsage=None optSrdIncForRow=0 */

/******************************************/
/* Global Write Alpha Beta Edge Batch #9 (d1,d0,vc1,vc0) = */
/*    (2,0,1,0:vw1); (2,1,1,0:vw1)        */
/******************************************/

/* calc coords, apply mask, and issue loads (if necessary) */
/* (d1,vc1,d0,vc0)=(2,1,0,0) */
_v_add_co_u32 v1, vcc, v1, 1                       // coord1.1: coord1Vgpr += d1*sg1*VW + vc1
GLOBAL_OFFSET_C 12, 0, 1, sgprWorkGroup2, 8
v_mov_b32 v8, v12                                  // temp store offset 0
v_mov_b32 v9, v13                                  // temp store offset 1
v_cmp_lt_u32 s[36:37], v0, s[sgprSizesFree+0]      // coord0 < size0
v_cmp_lt_u32 s[38:39], v1, s[sgprSizesFree+1]      // coord1 < size1
s_and_b64 s[40:41], s[36:37], s[38:39]             // in0 && in1
s_mov_b64 exec, s[40:41]                           // sgprs -> exec
_v_add_co_u32 v12, vcc, v4, v8                     // addrVgpr = C + index*bytes (lo)
_v_addc_co_u32 v13, vcc, v5, v9, vcc               // addrVgpr = C + index*bytes (hi)
_global_load_b32 v11, v[12:13], off, offset:0      // load C for beta calc
GLOBAL_OFFSET_D 12, 0, 1, sgprWorkGroup2, 8
v_mov_b32 v8, v12                                  // temp store offset 0
v_mov_b32 v9, v13                                  // temp store offset 1
v_cmp_lt_u32 s[36:37], v0, s[sgprSizesFree+0]      // coord0 < size0
v_cmp_lt_u32 s[38:39], v1, s[sgprSizesFree+1]      // coord1 < size1
s_and_b64 s[40:41], s[36:37], s[38:39]             // in0 && in1
s_mov_b64 exec, s[40:41]                           // sgprs -> exec
_v_add_co_u32 v12, vcc, v2, v8                     // addrVgpr = D + index*bytes (lo)
_v_addc_co_u32 v13, vcc, v3, v9, vcc               // addrVgpr = D + index*bytes (hi)
s_mov_b64 exec, -1                                 // full mask -1 -> exec
/* (d1,vc1,d0,vc0)=(2,1,1,0) */
_v_add_co_u32 v6, vcc, v0, 64                      // coord0.1: coord0 += d0*sg0*VW + vc0
GLOBAL_OFFSET_C 16, 6, 1, sgprWorkGroup2, 8
v_mov_b32 v8, v16                                  // temp store offset 0
v_mov_b32 v9, v17                                  // temp store offset 1
v_cmp_lt_u32 s[36:37], v6, s[sgprSizesFree+0]      // coord0 < size0
v_cmp_lt_u32 s[38:39], v1, s[sgprSizesFree+1]      // coord1 < size1
s_and_b64 s[42:43], s[36:37], s[38:39]             // in0 && in1
s_mov_b64 exec, s[42:43]                           // sgprs -> exec
_v_add_co_u32 v16, vcc, v4, v8                     // addrVgpr = C + index*bytes (lo)
_v_addc_co_u32 v17, vcc, v5, v9, vcc               // addrVgpr = C + index*bytes (hi)
_global_load_b32 v15, v[16:17], off, offset:0      // load C for beta calc
GLOBAL_OFFSET_D 16, 6, 1, sgprWorkGroup2, 8
v_mov_b32 v8, v16                                  // temp store offset 0
v_mov_b32 v9, v17                                  // temp store offset 1
v_cmp_lt_u32 s[36:37], v6, s[sgprSizesFree+0]      // coord0 < size0
v_cmp_lt_u32 s[38:39], v1, s[sgprSizesFree+1]      // coord1 < size1
s_and_b64 s[42:43], s[36:37], s[38:39]             // in0 && in1
s_mov_b64 exec, s[42:43]                           // sgprs -> exec
_v_add_co_u32 v16, vcc, v2, v8                     // addrVgpr = D + index*bytes (lo)
_v_addc_co_u32 v17, vcc, v3, v9, vcc               // addrVgpr = D + index*bytes (hi)
s_mov_b64 exec, -1                                 // full mask -1 -> exec
v_accvgpr_read_b32 v[vgprValuC+14], acc9 // copy acc to vreg[18]
v_accvgpr_read_b32 v[vgprValuC+18], acc25 // copy acc to vreg[19]
s_nop 1                                            // 2 wait states required before reading vgpr

/* rC *= alpha batchElements=[(2, 0, 1, 0), (2, 1, 1, 0)] */
v_mul_f32 v[vgprValuC+14], s[sgprAlpha], v[vgprValuC+14] // *= alpha
v_mul_f32 v[vgprValuC+18], s[sgprAlpha], v[vgprValuC+18] // *= alpha
s_waitcnt vmcnt(0)                                 // wait C

/* apply mask, calc new C and issue writes */
s_mov_b64 exec, s[40:41]                           // sgprs -> exec
_v_mac_f32 v[vgprValuC+14], v11, s[sgprBeta]       // finalSum = sum*alpha + C*beta
_global_store_b32 v[12:13], v14, off               // store D
s_mov_b64 exec, s[42:43]                           // sgprs -> exec
_v_mac_f32 v[vgprValuC+18], v15, s[sgprBeta]       // finalSum = sum*alpha + C*beta
_global_store_b32 v[16:17], v18, off               // store D
s_mov_b64 exec, -1                                 // full mask -> exec
s_nop 0                                            // 1 wait state required when next inst writes vgprs held by previous dwordx4 store inst
/* optSingleColVgpr=0 optSharedColVgpr=0 optSGPRUsage=None optSrdIncForRow=0 */

/******************************************/
/* Global Write Alpha Beta Edge Batch #10 (d1,d0,vc1,vc0) = */
/*    (2,0,2,0:vw1); (2,1,2,0:vw1)        */
/******************************************/

/* calc coords, apply mask, and issue loads (if necessary) */
/* (d1,vc1,d0,vc0)=(2,2,0,0) */
_v_add_co_u32 v1, vcc, v1, 1                       // coord1.1: coord1Vgpr += d1*sg1*VW + vc1
GLOBAL_OFFSET_C 12, 0, 1, sgprWorkGroup2, 8
v_mov_b32 v8, v12                                  // temp store offset 0
v_mov_b32 v9, v13                                  // temp store offset 1
v_cmp_lt_u32 s[36:37], v0, s[sgprSizesFree+0]      // coord0 < size0
v_cmp_lt_u32 s[38:39], v1, s[sgprSizesFree+1]      // coord1 < size1
s_and_b64 s[40:41], s[36:37], s[38:39]             // in0 && in1
s_mov_b64 exec, s[40:41]                           // sgprs -> exec
_v_add_co_u32 v12, vcc, v4, v8                     // addrVgpr = C + index*bytes (lo)
_v_addc_co_u32 v13, vcc, v5, v9, vcc               // addrVgpr = C + index*bytes (hi)
_global_load_b32 v11, v[12:13], off, offset:0      // load C for beta calc
GLOBAL_OFFSET_D 12, 0, 1, sgprWorkGroup2, 8
v_mov_b32 v8, v12                                  // temp store offset 0
v_mov_b32 v9, v13                                  // temp store offset 1
v_cmp_lt_u32 s[36:37], v0, s[sgprSizesFree+0]      // coord0 < size0
v_cmp_lt_u32 s[38:39], v1, s[sgprSizesFree+1]      // coord1 < size1
s_and_b64 s[40:41], s[36:37], s[38:39]             // in0 && in1
s_mov_b64 exec, s[40:41]                           // sgprs -> exec
_v_add_co_u32 v12, vcc, v2, v8                     // addrVgpr = D + index*bytes (lo)
_v_addc_co_u32 v13, vcc, v3, v9, vcc               // addrVgpr = D + index*bytes (hi)
s_mov_b64 exec, -1                                 // full mask -1 -> exec
/* (d1,vc1,d0,vc0)=(2,2,1,0) */
_v_add_co_u32 v6, vcc, v0, 64                      // coord0.1: coord0 += d0*sg0*VW + vc0
GLOBAL_OFFSET_C 16, 6, 1, sgprWorkGroup2, 8
v_mov_b32 v8, v16                                  // temp store offset 0
v_mov_b32 v9, v17                                  // temp store offset 1
v_cmp_lt_u32 s[36:37], v6, s[sgprSizesFree+0]      // coord0 < size0
v_cmp_lt_u32 s[38:39], v1, s[sgprSizesFree+1]      // coord1 < size1
s_and_b64 s[42:43], s[36:37], s[38:39]             // in0 && in1
s_mov_b64 exec, s[42:43]                           // sgprs -> exec
_v_add_co_u32 v16, vcc, v4, v8                     // addrVgpr = C + index*bytes (lo)
_v_addc_co_u32 v17, vcc, v5, v9, vcc               // addrVgpr = C + index*bytes (hi)
_global_load_b32 v15, v[16:17], off, offset:0      // load C for beta calc
GLOBAL_OFFSET_D 16, 6, 1, sgprWorkGroup2, 8
v_mov_b32 v8, v16                                  // temp store offset 0
v_mov_b32 v9, v17                                  // temp store offset 1
v_cmp_lt_u32 s[36:37], v6, s[sgprSizesFree+0]      // coord0 < size0
v_cmp_lt_u32 s[38:39], v1, s[sgprSizesFree+1]      // coord1 < size1
s_and_b64 s[42:43], s[36:37], s[38:39]             // in0 && in1
s_mov_b64 exec, s[42:43]                           // sgprs -> exec
_v_add_co_u32 v16, vcc, v2, v8                     // addrVgpr = D + index*bytes (lo)
_v_addc_co_u32 v17, vcc, v3, v9, vcc               // addrVgpr = D + index*bytes (hi)
s_mov_b64 exec, -1                                 // full mask -1 -> exec
v_accvgpr_read_b32 v[vgprValuC+14], acc10 // copy acc to vreg[20]
v_accvgpr_read_b32 v[vgprValuC+18], acc26 // copy acc to vreg[21]
s_nop 1                                            // 2 wait states required before reading vgpr

/* rC *= alpha batchElements=[(2, 0, 2, 0), (2, 1, 2, 0)] */
v_mul_f32 v[vgprValuC+14], s[sgprAlpha], v[vgprValuC+14] // *= alpha
v_mul_f32 v[vgprValuC+18], s[sgprAlpha], v[vgprValuC+18] // *= alpha
s_waitcnt vmcnt(0)                                 // wait C

/* apply mask, calc new C and issue writes */
s_mov_b64 exec, s[40:41]                           // sgprs -> exec
_v_mac_f32 v[vgprValuC+14], v11, s[sgprBeta]       // finalSum = sum*alpha + C*beta
_global_store_b32 v[12:13], v14, off               // store D
s_mov_b64 exec, s[42:43]                           // sgprs -> exec
_v_mac_f32 v[vgprValuC+18], v15, s[sgprBeta]       // finalSum = sum*alpha + C*beta
_global_store_b32 v[16:17], v18, off               // store D
s_mov_b64 exec, -1                                 // full mask -> exec
s_nop 0                                            // 1 wait state required when next inst writes vgprs held by previous dwordx4 store inst
/* optSingleColVgpr=0 optSharedColVgpr=0 optSGPRUsage=None optSrdIncForRow=0 */

/******************************************/
/* Global Write Alpha Beta Edge Batch #11 (d1,d0,vc1,vc0) = */
/*    (2,0,3,0:vw1); (2,1,3,0:vw1)        */
/******************************************/

/* calc coords, apply mask, and issue loads (if necessary) */
/* (d1,vc1,d0,vc0)=(2,3,0,0) */
_v_add_co_u32 v1, vcc, v1, 1                       // coord1.1: coord1Vgpr += d1*sg1*VW + vc1
GLOBAL_OFFSET_C 12, 0, 1, sgprWorkGroup2, 8
v_mov_b32 v8, v12                                  // temp store offset 0
v_mov_b32 v9, v13                                  // temp store offset 1
v_cmp_lt_u32 s[36:37], v0, s[sgprSizesFree+0]      // coord0 < size0
v_cmp_lt_u32 s[38:39], v1, s[sgprSizesFree+1]      // coord1 < size1
s_and_b64 s[40:41], s[36:37], s[38:39]             // in0 && in1
s_mov_b64 exec, s[40:41]                           // sgprs -> exec
_v_add_co_u32 v12, vcc, v4, v8                     // addrVgpr = C + index*bytes (lo)
_v_addc_co_u32 v13, vcc, v5, v9, vcc               // addrVgpr = C + index*bytes (hi)
_global_load_b32 v11, v[12:13], off, offset:0      // load C for beta calc
GLOBAL_OFFSET_D 12, 0, 1, sgprWorkGroup2, 8
v_mov_b32 v8, v12                                  // temp store offset 0
v_mov_b32 v9, v13                                  // temp store offset 1
v_cmp_lt_u32 s[36:37], v0, s[sgprSizesFree+0]      // coord0 < size0
v_cmp_lt_u32 s[38:39], v1, s[sgprSizesFree+1]      // coord1 < size1
s_and_b64 s[40:41], s[36:37], s[38:39]             // in0 && in1
s_mov_b64 exec, s[40:41]                           // sgprs -> exec
_v_add_co_u32 v12, vcc, v2, v8                     // addrVgpr = D + index*bytes (lo)
_v_addc_co_u32 v13, vcc, v3, v9, vcc               // addrVgpr = D + index*bytes (hi)
s_mov_b64 exec, -1                                 // full mask -1 -> exec
/* (d1,vc1,d0,vc0)=(2,3,1,0) */
_v_add_co_u32 v6, vcc, v0, 64                      // coord0.1: coord0 += d0*sg0*VW + vc0
GLOBAL_OFFSET_C 16, 6, 1, sgprWorkGroup2, 8
v_mov_b32 v8, v16                                  // temp store offset 0
v_mov_b32 v9, v17                                  // temp store offset 1
v_cmp_lt_u32 s[36:37], v6, s[sgprSizesFree+0]      // coord0 < size0
v_cmp_lt_u32 s[38:39], v1, s[sgprSizesFree+1]      // coord1 < size1
s_and_b64 s[42:43], s[36:37], s[38:39]             // in0 && in1
s_mov_b64 exec, s[42:43]                           // sgprs -> exec
_v_add_co_u32 v16, vcc, v4, v8                     // addrVgpr = C + index*bytes (lo)
_v_addc_co_u32 v17, vcc, v5, v9, vcc               // addrVgpr = C + index*bytes (hi)
_global_load_b32 v15, v[16:17], off, offset:0      // load C for beta calc
GLOBAL_OFFSET_D 16, 6, 1, sgprWorkGroup2, 8
v_mov_b32 v8, v16                                  // temp store offset 0
v_mov_b32 v9, v17                                  // temp store offset 1
v_cmp_lt_u32 s[36:37], v6, s[sgprSizesFree+0]      // coord0 < size0
v_cmp_lt_u32 s[38:39], v1, s[sgprSizesFree+1]      // coord1 < size1
s_and_b64 s[42:43], s[36:37], s[38:39]             // in0 && in1
s_mov_b64 exec, s[42:43]                           // sgprs -> exec
_v_add_co_u32 v16, vcc, v2, v8                     // addrVgpr = D + index*bytes (lo)
_v_addc_co_u32 v17, vcc, v3, v9, vcc               // addrVgpr = D + index*bytes (hi)
s_mov_b64 exec, -1                                 // full mask -1 -> exec
v_accvgpr_read_b32 v[vgprValuC+14], acc11 // copy acc to vreg[22]
v_accvgpr_read_b32 v[vgprValuC+18], acc27 // copy acc to vreg[23]
s_nop 1                                            // 2 wait states required before reading vgpr

/* rC *= alpha batchElements=[(2, 0, 3, 0), (2, 1, 3, 0)] */
v_mul_f32 v[vgprValuC+14], s[sgprAlpha], v[vgprValuC+14] // *= alpha
v_mul_f32 v[vgprValuC+18], s[sgprAlpha], v[vgprValuC+18] // *= alpha
s_waitcnt vmcnt(0)                                 // wait C

/* apply mask, calc new C and issue writes */
s_mov_b64 exec, s[40:41]                           // sgprs -> exec
_v_mac_f32 v[vgprValuC+14], v11, s[sgprBeta]       // finalSum = sum*alpha + C*beta
_global_store_b32 v[12:13], v14, off               // store D
s_mov_b64 exec, s[42:43]                           // sgprs -> exec
_v_mac_f32 v[vgprValuC+18], v15, s[sgprBeta]       // finalSum = sum*alpha + C*beta
_global_store_b32 v[16:17], v18, off               // store D
s_mov_b64 exec, -1                                 // full mask -> exec
s_nop 0                                            // 1 wait state required when next inst writes vgprs held by previous dwordx4 store inst
/* optSingleColVgpr=0 optSharedColVgpr=0 optSGPRUsage=None optSrdIncForRow=0 */

/******************************************/
/* Global Write Alpha Beta Edge Batch #12 (d1,d0,vc1,vc0) = */
/*    (3,0,0,0:vw1); (3,1,0,0:vw1)        */
/******************************************/

/* calc coords, apply mask, and issue loads (if necessary) */
/* (d1,vc1,d0,vc0)=(3,0,0,0) */
_v_add_co_u32 v1, vcc, v1, 5                       // coord1.1: coord1Vgpr += d1*sg1*VW + vc1
GLOBAL_OFFSET_C 12, 0, 1, sgprWorkGroup2, 8
v_mov_b32 v8, v12                                  // temp store offset 0
v_mov_b32 v9, v13                                  // temp store offset 1
v_cmp_lt_u32 s[36:37], v0, s[sgprSizesFree+0]      // coord0 < size0
v_cmp_lt_u32 s[38:39], v1, s[sgprSizesFree+1]      // coord1 < size1
s_and_b64 s[40:41], s[36:37], s[38:39]             // in0 && in1
s_mov_b64 exec, s[40:41]                           // sgprs -> exec
_v_add_co_u32 v12, vcc, v4, v8                     // addrVgpr = C + index*bytes (lo)
_v_addc_co_u32 v13, vcc, v5, v9, vcc               // addrVgpr = C + index*bytes (hi)
_global_load_b32 v11, v[12:13], off, offset:0      // load C for beta calc
GLOBAL_OFFSET_D 12, 0, 1, sgprWorkGroup2, 8
v_mov_b32 v8, v12                                  // temp store offset 0
v_mov_b32 v9, v13                                  // temp store offset 1
v_cmp_lt_u32 s[36:37], v0, s[sgprSizesFree+0]      // coord0 < size0
v_cmp_lt_u32 s[38:39], v1, s[sgprSizesFree+1]      // coord1 < size1
s_and_b64 s[40:41], s[36:37], s[38:39]             // in0 && in1
s_mov_b64 exec, s[40:41]                           // sgprs -> exec
_v_add_co_u32 v12, vcc, v2, v8                     // addrVgpr = D + index*bytes (lo)
_v_addc_co_u32 v13, vcc, v3, v9, vcc               // addrVgpr = D + index*bytes (hi)
s_mov_b64 exec, -1                                 // full mask -1 -> exec
/* (d1,vc1,d0,vc0)=(3,0,1,0) */
_v_add_co_u32 v6, vcc, v0, 64                      // coord0.1: coord0 += d0*sg0*VW + vc0
GLOBAL_OFFSET_C 16, 6, 1, sgprWorkGroup2, 8
v_mov_b32 v8, v16                                  // temp store offset 0
v_mov_b32 v9, v17                                  // temp store offset 1
v_cmp_lt_u32 s[36:37], v6, s[sgprSizesFree+0]      // coord0 < size0
v_cmp_lt_u32 s[38:39], v1, s[sgprSizesFree+1]      // coord1 < size1
s_and_b64 s[42:43], s[36:37], s[38:39]             // in0 && in1
s_mov_b64 exec, s[42:43]                           // sgprs -> exec
_v_add_co_u32 v16, vcc, v4, v8                     // addrVgpr = C + index*bytes (lo)
_v_addc_co_u32 v17, vcc, v5, v9, vcc               // addrVgpr = C + index*bytes (hi)
_global_load_b32 v15, v[16:17], off, offset:0      // load C for beta calc
GLOBAL_OFFSET_D 16, 6, 1, sgprWorkGroup2, 8
v_mov_b32 v8, v16                                  // temp store offset 0
v_mov_b32 v9, v17                                  // temp store offset 1
v_cmp_lt_u32 s[36:37], v6, s[sgprSizesFree+0]      // coord0 < size0
v_cmp_lt_u32 s[38:39], v1, s[sgprSizesFree+1]      // coord1 < size1
s_and_b64 s[42:43], s[36:37], s[38:39]             // in0 && in1
s_mov_b64 exec, s[42:43]                           // sgprs -> exec
_v_add_co_u32 v16, vcc, v2, v8                     // addrVgpr = D + index*bytes (lo)
_v_addc_co_u32 v17, vcc, v3, v9, vcc               // addrVgpr = D + index*bytes (hi)
s_mov_b64 exec, -1                                 // full mask -1 -> exec
v_accvgpr_read_b32 v[vgprValuC+14], acc12 // copy acc to vreg[24]
v_accvgpr_read_b32 v[vgprValuC+18], acc28 // copy acc to vreg[25]
s_nop 1                                            // 2 wait states required before reading vgpr

/* rC *= alpha batchElements=[(3, 0, 0, 0), (3, 1, 0, 0)] */
v_mul_f32 v[vgprValuC+14], s[sgprAlpha], v[vgprValuC+14] // *= alpha
v_mul_f32 v[vgprValuC+18], s[sgprAlpha], v[vgprValuC+18] // *= alpha
s_waitcnt vmcnt(0)                                 // wait C

/* apply mask, calc new C and issue writes */
s_mov_b64 exec, s[40:41]                           // sgprs -> exec
_v_mac_f32 v[vgprValuC+14], v11, s[sgprBeta]       // finalSum = sum*alpha + C*beta
_global_store_b32 v[12:13], v14, off               // store D
s_mov_b64 exec, s[42:43]                           // sgprs -> exec
_v_mac_f32 v[vgprValuC+18], v15, s[sgprBeta]       // finalSum = sum*alpha + C*beta
_global_store_b32 v[16:17], v18, off               // store D
s_mov_b64 exec, -1                                 // full mask -> exec
s_nop 0                                            // 1 wait state required when next inst writes vgprs held by previous dwordx4 store inst
/* optSingleColVgpr=0 optSharedColVgpr=0 optSGPRUsage=None optSrdIncForRow=0 */

/******************************************/
/* Global Write Alpha Beta Edge Batch #13 (d1,d0,vc1,vc0) = */
/*    (3,0,1,0:vw1); (3,1,1,0:vw1)        */
/******************************************/

/* calc coords, apply mask, and issue loads (if necessary) */
/* (d1,vc1,d0,vc0)=(3,1,0,0) */
_v_add_co_u32 v1, vcc, v1, 1                       // coord1.1: coord1Vgpr += d1*sg1*VW + vc1
GLOBAL_OFFSET_C 12, 0, 1, sgprWorkGroup2, 8
v_mov_b32 v8, v12                                  // temp store offset 0
v_mov_b32 v9, v13                                  // temp store offset 1
v_cmp_lt_u32 s[36:37], v0, s[sgprSizesFree+0]      // coord0 < size0
v_cmp_lt_u32 s[38:39], v1, s[sgprSizesFree+1]      // coord1 < size1
s_and_b64 s[40:41], s[36:37], s[38:39]             // in0 && in1
s_mov_b64 exec, s[40:41]                           // sgprs -> exec
_v_add_co_u32 v12, vcc, v4, v8                     // addrVgpr = C + index*bytes (lo)
_v_addc_co_u32 v13, vcc, v5, v9, vcc               // addrVgpr = C + index*bytes (hi)
_global_load_b32 v11, v[12:13], off, offset:0      // load C for beta calc
GLOBAL_OFFSET_D 12, 0, 1, sgprWorkGroup2, 8
v_mov_b32 v8, v12                                  // temp store offset 0
v_mov_b32 v9, v13                                  // temp store offset 1
v_cmp_lt_u32 s[36:37], v0, s[sgprSizesFree+0]      // coord0 < size0
v_cmp_lt_u32 s[38:39], v1, s[sgprSizesFree+1]      // coord1 < size1
s_and_b64 s[40:41], s[36:37], s[38:39]             // in0 && in1
s_mov_b64 exec, s[40:41]                           // sgprs -> exec
_v_add_co_u32 v12, vcc, v2, v8                     // addrVgpr = D + index*bytes (lo)
_v_addc_co_u32 v13, vcc, v3, v9, vcc               // addrVgpr = D + index*bytes (hi)
s_mov_b64 exec, -1                                 // full mask -1 -> exec
/* (d1,vc1,d0,vc0)=(3,1,1,0) */
_v_add_co_u32 v6, vcc, v0, 64                      // coord0.1: coord0 += d0*sg0*VW + vc0
GLOBAL_OFFSET_C 16, 6, 1, sgprWorkGroup2, 8
v_mov_b32 v8, v16                                  // temp store offset 0
v_mov_b32 v9, v17                                  // temp store offset 1
v_cmp_lt_u32 s[36:37], v6, s[sgprSizesFree+0]      // coord0 < size0
v_cmp_lt_u32 s[38:39], v1, s[sgprSizesFree+1]      // coord1 < size1
s_and_b64 s[42:43], s[36:37], s[38:39]             // in0 && in1
s_mov_b64 exec, s[42:43]                           // sgprs -> exec
_v_add_co_u32 v16, vcc, v4, v8                     // addrVgpr = C + index*bytes (lo)
_v_addc_co_u32 v17, vcc, v5, v9, vcc               // addrVgpr = C + index*bytes (hi)
_global_load_b32 v15, v[16:17], off, offset:0      // load C for beta calc
GLOBAL_OFFSET_D 16, 6, 1, sgprWorkGroup2, 8
v_mov_b32 v8, v16                                  // temp store offset 0
v_mov_b32 v9, v17                                  // temp store offset 1
v_cmp_lt_u32 s[36:37], v6, s[sgprSizesFree+0]      // coord0 < size0
v_cmp_lt_u32 s[38:39], v1, s[sgprSizesFree+1]      // coord1 < size1
s_and_b64 s[42:43], s[36:37], s[38:39]             // in0 && in1
s_mov_b64 exec, s[42:43]                           // sgprs -> exec
_v_add_co_u32 v16, vcc, v2, v8                     // addrVgpr = D + index*bytes (lo)
_v_addc_co_u32 v17, vcc, v3, v9, vcc               // addrVgpr = D + index*bytes (hi)
s_mov_b64 exec, -1                                 // full mask -1 -> exec
v_accvgpr_read_b32 v[vgprValuC+14], acc13 // copy acc to vreg[26]
v_accvgpr_read_b32 v[vgprValuC+18], acc29 // copy acc to vreg[27]
s_nop 1                                            // 2 wait states required before reading vgpr

/* rC *= alpha batchElements=[(3, 0, 1, 0), (3, 1, 1, 0)] */
v_mul_f32 v[vgprValuC+14], s[sgprAlpha], v[vgprValuC+14] // *= alpha
v_mul_f32 v[vgprValuC+18], s[sgprAlpha], v[vgprValuC+18] // *= alpha
s_waitcnt vmcnt(0)                                 // wait C

/* apply mask, calc new C and issue writes */
s_mov_b64 exec, s[40:41]                           // sgprs -> exec
_v_mac_f32 v[vgprValuC+14], v11, s[sgprBeta]       // finalSum = sum*alpha + C*beta
_global_store_b32 v[12:13], v14, off               // store D
s_mov_b64 exec, s[42:43]                           // sgprs -> exec
_v_mac_f32 v[vgprValuC+18], v15, s[sgprBeta]       // finalSum = sum*alpha + C*beta
_global_store_b32 v[16:17], v18, off               // store D
s_mov_b64 exec, -1                                 // full mask -> exec
s_nop 0                                            // 1 wait state required when next inst writes vgprs held by previous dwordx4 store inst
/* optSingleColVgpr=0 optSharedColVgpr=0 optSGPRUsage=None optSrdIncForRow=0 */

/******************************************/
/* Global Write Alpha Beta Edge Batch #14 (d1,d0,vc1,vc0) = */
/*    (3,0,2,0:vw1); (3,1,2,0:vw1)        */
/******************************************/

/* calc coords, apply mask, and issue loads (if necessary) */
/* (d1,vc1,d0,vc0)=(3,2,0,0) */
_v_add_co_u32 v1, vcc, v1, 1                       // coord1.1: coord1Vgpr += d1*sg1*VW + vc1
GLOBAL_OFFSET_C 12, 0, 1, sgprWorkGroup2, 8
v_mov_b32 v8, v12                                  // temp store offset 0
v_mov_b32 v9, v13                                  // temp store offset 1
v_cmp_lt_u32 s[36:37], v0, s[sgprSizesFree+0]      // coord0 < size0
v_cmp_lt_u32 s[38:39], v1, s[sgprSizesFree+1]      // coord1 < size1
s_and_b64 s[40:41], s[36:37], s[38:39]             // in0 && in1
s_mov_b64 exec, s[40:41]                           // sgprs -> exec
_v_add_co_u32 v12, vcc, v4, v8                     // addrVgpr = C + index*bytes (lo)
_v_addc_co_u32 v13, vcc, v5, v9, vcc               // addrVgpr = C + index*bytes (hi)
_global_load_b32 v11, v[12:13], off, offset:0      // load C for beta calc
GLOBAL_OFFSET_D 12, 0, 1, sgprWorkGroup2, 8
v_mov_b32 v8, v12                                  // temp store offset 0
v_mov_b32 v9, v13                                  // temp store offset 1
v_cmp_lt_u32 s[36:37], v0, s[sgprSizesFree+0]      // coord0 < size0
v_cmp_lt_u32 s[38:39], v1, s[sgprSizesFree+1]      // coord1 < size1
s_and_b64 s[40:41], s[36:37], s[38:39]             // in0 && in1
s_mov_b64 exec, s[40:41]                           // sgprs -> exec
_v_add_co_u32 v12, vcc, v2, v8                     // addrVgpr = D + index*bytes (lo)
_v_addc_co_u32 v13, vcc, v3, v9, vcc               // addrVgpr = D + index*bytes (hi)
s_mov_b64 exec, -1                                 // full mask -1 -> exec
/* (d1,vc1,d0,vc0)=(3,2,1,0) */
_v_add_co_u32 v6, vcc, v0, 64                      // coord0.1: coord0 += d0*sg0*VW + vc0
GLOBAL_OFFSET_C 16, 6, 1, sgprWorkGroup2, 8
v_mov_b32 v8, v16                                  // temp store offset 0
v_mov_b32 v9, v17                                  // temp store offset 1
v_cmp_lt_u32 s[36:37], v6, s[sgprSizesFree+0]      // coord0 < size0
v_cmp_lt_u32 s[38:39], v1, s[sgprSizesFree+1]      // coord1 < size1
s_and_b64 s[42:43], s[36:37], s[38:39]             // in0 && in1
s_mov_b64 exec, s[42:43]                           // sgprs -> exec
_v_add_co_u32 v16, vcc, v4, v8                     // addrVgpr = C + index*bytes (lo)
_v_addc_co_u32 v17, vcc, v5, v9, vcc               // addrVgpr = C + index*bytes (hi)
_global_load_b32 v15, v[16:17], off, offset:0      // load C for beta calc
GLOBAL_OFFSET_D 16, 6, 1, sgprWorkGroup2, 8
v_mov_b32 v8, v16                                  // temp store offset 0
v_mov_b32 v9, v17                                  // temp store offset 1
v_cmp_lt_u32 s[36:37], v6, s[sgprSizesFree+0]      // coord0 < size0
v_cmp_lt_u32 s[38:39], v1, s[sgprSizesFree+1]      // coord1 < size1
s_and_b64 s[42:43], s[36:37], s[38:39]             // in0 && in1
s_mov_b64 exec, s[42:43]                           // sgprs -> exec
_v_add_co_u32 v16, vcc, v2, v8                     // addrVgpr = D + index*bytes (lo)
_v_addc_co_u32 v17, vcc, v3, v9, vcc               // addrVgpr = D + index*bytes (hi)
s_mov_b64 exec, -1                                 // full mask -1 -> exec
v_accvgpr_read_b32 v[vgprValuC+14], acc14 // copy acc to vreg[28]
v_accvgpr_read_b32 v[vgprValuC+18], acc30 // copy acc to vreg[29]
s_nop 1                                            // 2 wait states required before reading vgpr

/* rC *= alpha batchElements=[(3, 0, 2, 0), (3, 1, 2, 0)] */
v_mul_f32 v[vgprValuC+14], s[sgprAlpha], v[vgprValuC+14] // *= alpha
v_mul_f32 v[vgprValuC+18], s[sgprAlpha], v[vgprValuC+18] // *= alpha
s_waitcnt vmcnt(0)                                 // wait C

/* apply mask, calc new C and issue writes */
s_mov_b64 exec, s[40:41]                           // sgprs -> exec
_v_mac_f32 v[vgprValuC+14], v11, s[sgprBeta]       // finalSum = sum*alpha + C*beta
_global_store_b32 v[12:13], v14, off               // store D
s_mov_b64 exec, s[42:43]                           // sgprs -> exec
_v_mac_f32 v[vgprValuC+18], v15, s[sgprBeta]       // finalSum = sum*alpha + C*beta
_global_store_b32 v[16:17], v18, off               // store D
s_mov_b64 exec, -1                                 // full mask -> exec
s_nop 0                                            // 1 wait state required when next inst writes vgprs held by previous dwordx4 store inst
/* optSingleColVgpr=0 optSharedColVgpr=0 optSGPRUsage=None optSrdIncForRow=0 */

/******************************************/
/* Global Write Alpha Beta Edge Batch #15 (d1,d0,vc1,vc0) = */
/*    (3,0,3,0:vw1); (3,1,3,0:vw1)        */
/******************************************/

/* calc coords, apply mask, and issue loads (if necessary) */
/* (d1,vc1,d0,vc0)=(3,3,0,0) */
_v_add_co_u32 v1, vcc, v1, 1                       // coord1.1: coord1Vgpr += d1*sg1*VW + vc1
GLOBAL_OFFSET_C 12, 0, 1, sgprWorkGroup2, 8
v_mov_b32 v8, v12                                  // temp store offset 0
v_mov_b32 v9, v13                                  // temp store offset 1
v_cmp_lt_u32 s[36:37], v0, s[sgprSizesFree+0]      // coord0 < size0
v_cmp_lt_u32 s[38:39], v1, s[sgprSizesFree+1]      // coord1 < size1
s_and_b64 s[40:41], s[36:37], s[38:39]             // in0 && in1
s_mov_b64 exec, s[40:41]                           // sgprs -> exec
_v_add_co_u32 v12, vcc, v4, v8                     // addrVgpr = C + index*bytes (lo)
_v_addc_co_u32 v13, vcc, v5, v9, vcc               // addrVgpr = C + index*bytes (hi)
_global_load_b32 v11, v[12:13], off, offset:0      // load C for beta calc
GLOBAL_OFFSET_D 12, 0, 1, sgprWorkGroup2, 8
v_mov_b32 v8, v12                                  // temp store offset 0
v_mov_b32 v9, v13                                  // temp store offset 1
v_cmp_lt_u32 s[36:37], v0, s[sgprSizesFree+0]      // coord0 < size0
v_cmp_lt_u32 s[38:39], v1, s[sgprSizesFree+1]      // coord1 < size1
s_and_b64 s[40:41], s[36:37], s[38:39]             // in0 && in1
s_mov_b64 exec, s[40:41]                           // sgprs -> exec
_v_add_co_u32 v12, vcc, v2, v8                     // addrVgpr = D + index*bytes (lo)
_v_addc_co_u32 v13, vcc, v3, v9, vcc               // addrVgpr = D + index*bytes (hi)
s_mov_b64 exec, -1                                 // full mask -1 -> exec
/* (d1,vc1,d0,vc0)=(3,3,1,0) */
_v_add_co_u32 v6, vcc, v0, 64                      // coord0.1: coord0 += d0*sg0*VW + vc0
GLOBAL_OFFSET_C 16, 6, 1, sgprWorkGroup2, 8
v_mov_b32 v8, v16                                  // temp store offset 0
v_mov_b32 v9, v17                                  // temp store offset 1
v_cmp_lt_u32 s[36:37], v6, s[sgprSizesFree+0]      // coord0 < size0
v_cmp_lt_u32 s[38:39], v1, s[sgprSizesFree+1]      // coord1 < size1
s_and_b64 s[42:43], s[36:37], s[38:39]             // in0 && in1
s_mov_b64 exec, s[42:43]                           // sgprs -> exec
_v_add_co_u32 v16, vcc, v4, v8                     // addrVgpr = C + index*bytes (lo)
_v_addc_co_u32 v17, vcc, v5, v9, vcc               // addrVgpr = C + index*bytes (hi)
_global_load_b32 v15, v[16:17], off, offset:0      // load C for beta calc
GLOBAL_OFFSET_D 16, 6, 1, sgprWorkGroup2, 8
v_mov_b32 v8, v16                                  // temp store offset 0
v_mov_b32 v9, v17                                  // temp store offset 1
v_cmp_lt_u32 s[36:37], v6, s[sgprSizesFree+0]      // coord0 < size0
v_cmp_lt_u32 s[38:39], v1, s[sgprSizesFree+1]      // coord1 < size1
s_and_b64 s[42:43], s[36:37], s[38:39]             // in0 && in1
s_mov_b64 exec, s[42:43]                           // sgprs -> exec
_v_add_co_u32 v16, vcc, v2, v8                     // addrVgpr = D + index*bytes (lo)
_v_addc_co_u32 v17, vcc, v3, v9, vcc               // addrVgpr = D + index*bytes (hi)
s_mov_b64 exec, -1                                 // full mask -1 -> exec
v_accvgpr_read_b32 v[vgprValuC+14], acc15 // copy acc to vreg[30]
v_accvgpr_read_b32 v[vgprValuC+18], acc31 // copy acc to vreg[31]
s_nop 1                                            // 2 wait states required before reading vgpr

/* rC *= alpha batchElements=[(3, 0, 3, 0), (3, 1, 3, 0)] */
v_mul_f32 v[vgprValuC+14], s[sgprAlpha], v[vgprValuC+14] // *= alpha
v_mul_f32 v[vgprValuC+18], s[sgprAlpha], v[vgprValuC+18] // *= alpha
s_waitcnt vmcnt(0)                                 // wait C

/* apply mask, calc new C and issue writes */
s_mov_b64 exec, s[40:41]                           // sgprs -> exec
_v_mac_f32 v[vgprValuC+14], v11, s[sgprBeta]       // finalSum = sum*alpha + C*beta
_global_store_b32 v[12:13], v14, off               // store D
s_mov_b64 exec, s[42:43]                           // sgprs -> exec
_v_mac_f32 v[vgprValuC+18], v15, s[sgprBeta]       // finalSum = sum*alpha + C*beta
_global_store_b32 v[16:17], v18, off               // store D
s_mov_b64 exec, -1                                 // full mask -> exec
s_nop 0                                            // 1 wait state required when next inst writes vgprs held by previous dwordx4 store inst
/* optSingleColVgpr=0 optSharedColVgpr=0 optSGPRUsage=None optSrdIncForRow=0 */

/******************************************/
/* Global Write Alpha Beta Edge Batch #16 (d1,d0,vc1,vc0) = */
/*    (4,0,0,0:vw1); (4,1,0,0:vw1)        */
/******************************************/

/* calc coords, apply mask, and issue loads (if necessary) */
/* (d1,vc1,d0,vc0)=(4,0,0,0) */
_v_add_co_u32 v1, vcc, v1, 37                      // coord1.1: coord1Vgpr += d1*sg1*VW + vc1
GLOBAL_OFFSET_C 12, 0, 1, sgprWorkGroup2, 8
v_mov_b32 v8, v12                                  // temp store offset 0
v_mov_b32 v9, v13                                  // temp store offset 1
v_cmp_lt_u32 s[36:37], v0, s[sgprSizesFree+0]      // coord0 < size0
v_cmp_lt_u32 s[38:39], v1, s[sgprSizesFree+1]      // coord1 < size1
s_and_b64 s[40:41], s[36:37], s[38:39]             // in0 && in1
s_mov_b64 exec, s[40:41]                           // sgprs -> exec
_v_add_co_u32 v12, vcc, v4, v8                     // addrVgpr = C + index*bytes (lo)
_v_addc_co_u32 v13, vcc, v5, v9, vcc               // addrVgpr = C + index*bytes (hi)
_global_load_b32 v11, v[12:13], off, offset:0      // load C for beta calc
GLOBAL_OFFSET_D 12, 0, 1, sgprWorkGroup2, 8
v_mov_b32 v8, v12                                  // temp store offset 0
v_mov_b32 v9, v13                                  // temp store offset 1
v_cmp_lt_u32 s[36:37], v0, s[sgprSizesFree+0]      // coord0 < size0
v_cmp_lt_u32 s[38:39], v1, s[sgprSizesFree+1]      // coord1 < size1
s_and_b64 s[40:41], s[36:37], s[38:39]             // in0 && in1
s_mov_b64 exec, s[40:41]                           // sgprs -> exec
_v_add_co_u32 v12, vcc, v2, v8                     // addrVgpr = D + index*bytes (lo)
_v_addc_co_u32 v13, vcc, v3, v9, vcc               // addrVgpr = D + index*bytes (hi)
s_mov_b64 exec, -1                                 // full mask -1 -> exec
/* (d1,vc1,d0,vc0)=(4,0,1,0) */
_v_add_co_u32 v6, vcc, v0, 64                      // coord0.1: coord0 += d0*sg0*VW + vc0
GLOBAL_OFFSET_C 16, 6, 1, sgprWorkGroup2, 8
v_mov_b32 v8, v16                                  // temp store offset 0
v_mov_b32 v9, v17                                  // temp store offset 1
v_cmp_lt_u32 s[36:37], v6, s[sgprSizesFree+0]      // coord0 < size0
v_cmp_lt_u32 s[38:39], v1, s[sgprSizesFree+1]      // coord1 < size1
s_and_b64 s[42:43], s[36:37], s[38:39]             // in0 && in1
s_mov_b64 exec, s[42:43]                           // sgprs -> exec
_v_add_co_u32 v16, vcc, v4, v8                     // addrVgpr = C + index*bytes (lo)
_v_addc_co_u32 v17, vcc, v5, v9, vcc               // addrVgpr = C + index*bytes (hi)
_global_load_b32 v15, v[16:17], off, offset:0      // load C for beta calc
GLOBAL_OFFSET_D 16, 6, 1, sgprWorkGroup2, 8
v_mov_b32 v8, v16                                  // temp store offset 0
v_mov_b32 v9, v17                                  // temp store offset 1
v_cmp_lt_u32 s[36:37], v6, s[sgprSizesFree+0]      // coord0 < size0
v_cmp_lt_u32 s[38:39], v1, s[sgprSizesFree+1]      // coord1 < size1
s_and_b64 s[42:43], s[36:37], s[38:39]             // in0 && in1
s_mov_b64 exec, s[42:43]                           // sgprs -> exec
_v_add_co_u32 v16, vcc, v2, v8                     // addrVgpr = D + index*bytes (lo)
_v_addc_co_u32 v17, vcc, v3, v9, vcc               // addrVgpr = D + index*bytes (hi)
s_mov_b64 exec, -1                                 // full mask -1 -> exec
v_accvgpr_read_b32 v[vgprValuC+14], acc32 // copy acc to vreg[32]
v_accvgpr_read_b32 v[vgprValuC+18], acc48 // copy acc to vreg[33]
s_nop 1                                            // 2 wait states required before reading vgpr

/* rC *= alpha batchElements=[(4, 0, 0, 0), (4, 1, 0, 0)] */
v_mul_f32 v[vgprValuC+14], s[sgprAlpha], v[vgprValuC+14] // *= alpha
v_mul_f32 v[vgprValuC+18], s[sgprAlpha], v[vgprValuC+18] // *= alpha
s_waitcnt vmcnt(0)                                 // wait C

/* apply mask, calc new C and issue writes */
s_mov_b64 exec, s[40:41]                           // sgprs -> exec
_v_mac_f32 v[vgprValuC+14], v11, s[sgprBeta]       // finalSum = sum*alpha + C*beta
_global_store_b32 v[12:13], v14, off               // store D
s_mov_b64 exec, s[42:43]                           // sgprs -> exec
_v_mac_f32 v[vgprValuC+18], v15, s[sgprBeta]       // finalSum = sum*alpha + C*beta
_global_store_b32 v[16:17], v18, off               // store D
s_mov_b64 exec, -1                                 // full mask -> exec
s_nop 0                                            // 1 wait state required when next inst writes vgprs held by previous dwordx4 store inst
/* optSingleColVgpr=0 optSharedColVgpr=0 optSGPRUsage=None optSrdIncForRow=0 */

/******************************************/
/* Global Write Alpha Beta Edge Batch #17 (d1,d0,vc1,vc0) = */
/*    (4,0,1,0:vw1); (4,1,1,0:vw1)        */
/******************************************/

/* calc coords, apply mask, and issue loads (if necessary) */
/* (d1,vc1,d0,vc0)=(4,1,0,0) */
_v_add_co_u32 v1, vcc, v1, 1                       // coord1.1: coord1Vgpr += d1*sg1*VW + vc1
GLOBAL_OFFSET_C 12, 0, 1, sgprWorkGroup2, 8
v_mov_b32 v8, v12                                  // temp store offset 0
v_mov_b32 v9, v13                                  // temp store offset 1
v_cmp_lt_u32 s[36:37], v0, s[sgprSizesFree+0]      // coord0 < size0
v_cmp_lt_u32 s[38:39], v1, s[sgprSizesFree+1]      // coord1 < size1
s_and_b64 s[40:41], s[36:37], s[38:39]             // in0 && in1
s_mov_b64 exec, s[40:41]                           // sgprs -> exec
_v_add_co_u32 v12, vcc, v4, v8                     // addrVgpr = C + index*bytes (lo)
_v_addc_co_u32 v13, vcc, v5, v9, vcc               // addrVgpr = C + index*bytes (hi)
_global_load_b32 v11, v[12:13], off, offset:0      // load C for beta calc
GLOBAL_OFFSET_D 12, 0, 1, sgprWorkGroup2, 8
v_mov_b32 v8, v12                                  // temp store offset 0
v_mov_b32 v9, v13                                  // temp store offset 1
v_cmp_lt_u32 s[36:37], v0, s[sgprSizesFree+0]      // coord0 < size0
v_cmp_lt_u32 s[38:39], v1, s[sgprSizesFree+1]      // coord1 < size1
s_and_b64 s[40:41], s[36:37], s[38:39]             // in0 && in1
s_mov_b64 exec, s[40:41]                           // sgprs -> exec
_v_add_co_u32 v12, vcc, v2, v8                     // addrVgpr = D + index*bytes (lo)
_v_addc_co_u32 v13, vcc, v3, v9, vcc               // addrVgpr = D + index*bytes (hi)
s_mov_b64 exec, -1                                 // full mask -1 -> exec
/* (d1,vc1,d0,vc0)=(4,1,1,0) */
_v_add_co_u32 v6, vcc, v0, 64                      // coord0.1: coord0 += d0*sg0*VW + vc0
GLOBAL_OFFSET_C 16, 6, 1, sgprWorkGroup2, 8
v_mov_b32 v8, v16                                  // temp store offset 0
v_mov_b32 v9, v17                                  // temp store offset 1
v_cmp_lt_u32 s[36:37], v6, s[sgprSizesFree+0]      // coord0 < size0
v_cmp_lt_u32 s[38:39], v1, s[sgprSizesFree+1]      // coord1 < size1
s_and_b64 s[42:43], s[36:37], s[38:39]             // in0 && in1
s_mov_b64 exec, s[42:43]                           // sgprs -> exec
_v_add_co_u32 v16, vcc, v4, v8                     // addrVgpr = C + index*bytes (lo)
_v_addc_co_u32 v17, vcc, v5, v9, vcc               // addrVgpr = C + index*bytes (hi)
_global_load_b32 v15, v[16:17], off, offset:0      // load C for beta calc
GLOBAL_OFFSET_D 16, 6, 1, sgprWorkGroup2, 8
v_mov_b32 v8, v16                                  // temp store offset 0
v_mov_b32 v9, v17                                  // temp store offset 1
v_cmp_lt_u32 s[36:37], v6, s[sgprSizesFree+0]      // coord0 < size0
v_cmp_lt_u32 s[38:39], v1, s[sgprSizesFree+1]      // coord1 < size1
s_and_b64 s[42:43], s[36:37], s[38:39]             // in0 && in1
s_mov_b64 exec, s[42:43]                           // sgprs -> exec
_v_add_co_u32 v16, vcc, v2, v8                     // addrVgpr = D + index*bytes (lo)
_v_addc_co_u32 v17, vcc, v3, v9, vcc               // addrVgpr = D + index*bytes (hi)
s_mov_b64 exec, -1                                 // full mask -1 -> exec
v_accvgpr_read_b32 v[vgprValuC+14], acc33 // copy acc to vreg[34]
v_accvgpr_read_b32 v[vgprValuC+18], acc49 // copy acc to vreg[35]
s_nop 1                                            // 2 wait states required before reading vgpr

/* rC *= alpha batchElements=[(4, 0, 1, 0), (4, 1, 1, 0)] */
v_mul_f32 v[vgprValuC+14], s[sgprAlpha], v[vgprValuC+14] // *= alpha
v_mul_f32 v[vgprValuC+18], s[sgprAlpha], v[vgprValuC+18] // *= alpha
s_waitcnt vmcnt(0)                                 // wait C

/* apply mask, calc new C and issue writes */
s_mov_b64 exec, s[40:41]                           // sgprs -> exec
_v_mac_f32 v[vgprValuC+14], v11, s[sgprBeta]       // finalSum = sum*alpha + C*beta
_global_store_b32 v[12:13], v14, off               // store D
s_mov_b64 exec, s[42:43]                           // sgprs -> exec
_v_mac_f32 v[vgprValuC+18], v15, s[sgprBeta]       // finalSum = sum*alpha + C*beta
_global_store_b32 v[16:17], v18, off               // store D
s_mov_b64 exec, -1                                 // full mask -> exec
s_nop 0                                            // 1 wait state required when next inst writes vgprs held by previous dwordx4 store inst
/* optSingleColVgpr=0 optSharedColVgpr=0 optSGPRUsage=None optSrdIncForRow=0 */

/******************************************/
/* Global Write Alpha Beta Edge Batch #18 (d1,d0,vc1,vc0) = */
/*    (4,0,2,0:vw1); (4,1,2,0:vw1)        */
/******************************************/

/* calc coords, apply mask, and issue loads (if necessary) */
/* (d1,vc1,d0,vc0)=(4,2,0,0) */
_v_add_co_u32 v1, vcc, v1, 1                       // coord1.1: coord1Vgpr += d1*sg1*VW + vc1
GLOBAL_OFFSET_C 12, 0, 1, sgprWorkGroup2, 8
v_mov_b32 v8, v12                                  // temp store offset 0
v_mov_b32 v9, v13                                  // temp store offset 1
v_cmp_lt_u32 s[36:37], v0, s[sgprSizesFree+0]      // coord0 < size0
v_cmp_lt_u32 s[38:39], v1, s[sgprSizesFree+1]      // coord1 < size1
s_and_b64 s[40:41], s[36:37], s[38:39]             // in0 && in1
s_mov_b64 exec, s[40:41]                           // sgprs -> exec
_v_add_co_u32 v12, vcc, v4, v8                     // addrVgpr = C + index*bytes (lo)
_v_addc_co_u32 v13, vcc, v5, v9, vcc               // addrVgpr = C + index*bytes (hi)
_global_load_b32 v11, v[12:13], off, offset:0      // load C for beta calc
GLOBAL_OFFSET_D 12, 0, 1, sgprWorkGroup2, 8
v_mov_b32 v8, v12                                  // temp store offset 0
v_mov_b32 v9, v13                                  // temp store offset 1
v_cmp_lt_u32 s[36:37], v0, s[sgprSizesFree+0]      // coord0 < size0
v_cmp_lt_u32 s[38:39], v1, s[sgprSizesFree+1]      // coord1 < size1
s_and_b64 s[40:41], s[36:37], s[38:39]             // in0 && in1
s_mov_b64 exec, s[40:41]                           // sgprs -> exec
_v_add_co_u32 v12, vcc, v2, v8                     // addrVgpr = D + index*bytes (lo)
_v_addc_co_u32 v13, vcc, v3, v9, vcc               // addrVgpr = D + index*bytes (hi)
s_mov_b64 exec, -1                                 // full mask -1 -> exec
/* (d1,vc1,d0,vc0)=(4,2,1,0) */
_v_add_co_u32 v6, vcc, v0, 64                      // coord0.1: coord0 += d0*sg0*VW + vc0
GLOBAL_OFFSET_C 16, 6, 1, sgprWorkGroup2, 8
v_mov_b32 v8, v16                                  // temp store offset 0
v_mov_b32 v9, v17                                  // temp store offset 1
v_cmp_lt_u32 s[36:37], v6, s[sgprSizesFree+0]      // coord0 < size0
v_cmp_lt_u32 s[38:39], v1, s[sgprSizesFree+1]      // coord1 < size1
s_and_b64 s[42:43], s[36:37], s[38:39]             // in0 && in1
s_mov_b64 exec, s[42:43]                           // sgprs -> exec
_v_add_co_u32 v16, vcc, v4, v8                     // addrVgpr = C + index*bytes (lo)
_v_addc_co_u32 v17, vcc, v5, v9, vcc               // addrVgpr = C + index*bytes (hi)
_global_load_b32 v15, v[16:17], off, offset:0      // load C for beta calc
GLOBAL_OFFSET_D 16, 6, 1, sgprWorkGroup2, 8
v_mov_b32 v8, v16                                  // temp store offset 0
v_mov_b32 v9, v17                                  // temp store offset 1
v_cmp_lt_u32 s[36:37], v6, s[sgprSizesFree+0]      // coord0 < size0
v_cmp_lt_u32 s[38:39], v1, s[sgprSizesFree+1]      // coord1 < size1
s_and_b64 s[42:43], s[36:37], s[38:39]             // in0 && in1
s_mov_b64 exec, s[42:43]                           // sgprs -> exec
_v_add_co_u32 v16, vcc, v2, v8                     // addrVgpr = D + index*bytes (lo)
_v_addc_co_u32 v17, vcc, v3, v9, vcc               // addrVgpr = D + index*bytes (hi)
s_mov_b64 exec, -1                                 // full mask -1 -> exec
v_accvgpr_read_b32 v[vgprValuC+14], acc34 // copy acc to vreg[36]
v_accvgpr_read_b32 v[vgprValuC+18], acc50 // copy acc to vreg[37]
s_nop 1                                            // 2 wait states required before reading vgpr

/* rC *= alpha batchElements=[(4, 0, 2, 0), (4, 1, 2, 0)] */
v_mul_f32 v[vgprValuC+14], s[sgprAlpha], v[vgprValuC+14] // *= alpha
v_mul_f32 v[vgprValuC+18], s[sgprAlpha], v[vgprValuC+18] // *= alpha
s_waitcnt vmcnt(0)                                 // wait C

/* apply mask, calc new C and issue writes */
s_mov_b64 exec, s[40:41]                           // sgprs -> exec
_v_mac_f32 v[vgprValuC+14], v11, s[sgprBeta]       // finalSum = sum*alpha + C*beta
_global_store_b32 v[12:13], v14, off               // store D
s_mov_b64 exec, s[42:43]                           // sgprs -> exec
_v_mac_f32 v[vgprValuC+18], v15, s[sgprBeta]       // finalSum = sum*alpha + C*beta
_global_store_b32 v[16:17], v18, off               // store D
s_mov_b64 exec, -1                                 // full mask -> exec
s_nop 0                                            // 1 wait state required when next inst writes vgprs held by previous dwordx4 store inst
/* optSingleColVgpr=0 optSharedColVgpr=0 optSGPRUsage=None optSrdIncForRow=0 */

/******************************************/
/* Global Write Alpha Beta Edge Batch #19 (d1,d0,vc1,vc0) = */
/*    (4,0,3,0:vw1); (4,1,3,0:vw1)        */
/******************************************/

/* calc coords, apply mask, and issue loads (if necessary) */
/* (d1,vc1,d0,vc0)=(4,3,0,0) */
_v_add_co_u32 v1, vcc, v1, 1                       // coord1.1: coord1Vgpr += d1*sg1*VW + vc1
GLOBAL_OFFSET_C 12, 0, 1, sgprWorkGroup2, 8
v_mov_b32 v8, v12                                  // temp store offset 0
v_mov_b32 v9, v13                                  // temp store offset 1
v_cmp_lt_u32 s[36:37], v0, s[sgprSizesFree+0]      // coord0 < size0
v_cmp_lt_u32 s[38:39], v1, s[sgprSizesFree+1]      // coord1 < size1
s_and_b64 s[40:41], s[36:37], s[38:39]             // in0 && in1
s_mov_b64 exec, s[40:41]                           // sgprs -> exec
_v_add_co_u32 v12, vcc, v4, v8                     // addrVgpr = C + index*bytes (lo)
_v_addc_co_u32 v13, vcc, v5, v9, vcc               // addrVgpr = C + index*bytes (hi)
_global_load_b32 v11, v[12:13], off, offset:0      // load C for beta calc
GLOBAL_OFFSET_D 12, 0, 1, sgprWorkGroup2, 8
v_mov_b32 v8, v12                                  // temp store offset 0
v_mov_b32 v9, v13                                  // temp store offset 1
v_cmp_lt_u32 s[36:37], v0, s[sgprSizesFree+0]      // coord0 < size0
v_cmp_lt_u32 s[38:39], v1, s[sgprSizesFree+1]      // coord1 < size1
s_and_b64 s[40:41], s[36:37], s[38:39]             // in0 && in1
s_mov_b64 exec, s[40:41]                           // sgprs -> exec
_v_add_co_u32 v12, vcc, v2, v8                     // addrVgpr = D + index*bytes (lo)
_v_addc_co_u32 v13, vcc, v3, v9, vcc               // addrVgpr = D + index*bytes (hi)
s_mov_b64 exec, -1                                 // full mask -1 -> exec
/* (d1,vc1,d0,vc0)=(4,3,1,0) */
_v_add_co_u32 v6, vcc, v0, 64                      // coord0.1: coord0 += d0*sg0*VW + vc0
GLOBAL_OFFSET_C 16, 6, 1, sgprWorkGroup2, 8
v_mov_b32 v8, v16                                  // temp store offset 0
v_mov_b32 v9, v17                                  // temp store offset 1
v_cmp_lt_u32 s[36:37], v6, s[sgprSizesFree+0]      // coord0 < size0
v_cmp_lt_u32 s[38:39], v1, s[sgprSizesFree+1]      // coord1 < size1
s_and_b64 s[42:43], s[36:37], s[38:39]             // in0 && in1
s_mov_b64 exec, s[42:43]                           // sgprs -> exec
_v_add_co_u32 v16, vcc, v4, v8                     // addrVgpr = C + index*bytes (lo)
_v_addc_co_u32 v17, vcc, v5, v9, vcc               // addrVgpr = C + index*bytes (hi)
_global_load_b32 v15, v[16:17], off, offset:0      // load C for beta calc
GLOBAL_OFFSET_D 16, 6, 1, sgprWorkGroup2, 8
v_mov_b32 v8, v16                                  // temp store offset 0
v_mov_b32 v9, v17                                  // temp store offset 1
v_cmp_lt_u32 s[36:37], v6, s[sgprSizesFree+0]      // coord0 < size0
v_cmp_lt_u32 s[38:39], v1, s[sgprSizesFree+1]      // coord1 < size1
s_and_b64 s[42:43], s[36:37], s[38:39]             // in0 && in1
s_mov_b64 exec, s[42:43]                           // sgprs -> exec
_v_add_co_u32 v16, vcc, v2, v8                     // addrVgpr = D + index*bytes (lo)
_v_addc_co_u32 v17, vcc, v3, v9, vcc               // addrVgpr = D + index*bytes (hi)
s_mov_b64 exec, -1                                 // full mask -1 -> exec
v_accvgpr_read_b32 v[vgprValuC+14], acc35 // copy acc to vreg[38]
v_accvgpr_read_b32 v[vgprValuC+18], acc51 // copy acc to vreg[39]
s_nop 1                                            // 2 wait states required before reading vgpr

/* rC *= alpha batchElements=[(4, 0, 3, 0), (4, 1, 3, 0)] */
v_mul_f32 v[vgprValuC+14], s[sgprAlpha], v[vgprValuC+14] // *= alpha
v_mul_f32 v[vgprValuC+18], s[sgprAlpha], v[vgprValuC+18] // *= alpha
s_waitcnt vmcnt(0)                                 // wait C

/* apply mask, calc new C and issue writes */
s_mov_b64 exec, s[40:41]                           // sgprs -> exec
_v_mac_f32 v[vgprValuC+14], v11, s[sgprBeta]       // finalSum = sum*alpha + C*beta
_global_store_b32 v[12:13], v14, off               // store D
s_mov_b64 exec, s[42:43]                           // sgprs -> exec
_v_mac_f32 v[vgprValuC+18], v15, s[sgprBeta]       // finalSum = sum*alpha + C*beta
_global_store_b32 v[16:17], v18, off               // store D
s_mov_b64 exec, -1                                 // full mask -> exec
s_nop 0                                            // 1 wait state required when next inst writes vgprs held by previous dwordx4 store inst
/* optSingleColVgpr=0 optSharedColVgpr=0 optSGPRUsage=None optSrdIncForRow=0 */

/******************************************/
/* Global Write Alpha Beta Edge Batch #20 (d1,d0,vc1,vc0) = */
/*    (5,0,0,0:vw1); (5,1,0,0:vw1)        */
/******************************************/

/* calc coords, apply mask, and issue loads (if necessary) */
/* (d1,vc1,d0,vc0)=(5,0,0,0) */
_v_add_co_u32 v1, vcc, v1, 5                       // coord1.1: coord1Vgpr += d1*sg1*VW + vc1
GLOBAL_OFFSET_C 12, 0, 1, sgprWorkGroup2, 8
v_mov_b32 v8, v12                                  // temp store offset 0
v_mov_b32 v9, v13                                  // temp store offset 1
v_cmp_lt_u32 s[36:37], v0, s[sgprSizesFree+0]      // coord0 < size0
v_cmp_lt_u32 s[38:39], v1, s[sgprSizesFree+1]      // coord1 < size1
s_and_b64 s[40:41], s[36:37], s[38:39]             // in0 && in1
s_mov_b64 exec, s[40:41]                           // sgprs -> exec
_v_add_co_u32 v12, vcc, v4, v8                     // addrVgpr = C + index*bytes (lo)
_v_addc_co_u32 v13, vcc, v5, v9, vcc               // addrVgpr = C + index*bytes (hi)
_global_load_b32 v11, v[12:13], off, offset:0      // load C for beta calc
GLOBAL_OFFSET_D 12, 0, 1, sgprWorkGroup2, 8
v_mov_b32 v8, v12                                  // temp store offset 0
v_mov_b32 v9, v13                                  // temp store offset 1
v_cmp_lt_u32 s[36:37], v0, s[sgprSizesFree+0]      // coord0 < size0
v_cmp_lt_u32 s[38:39], v1, s[sgprSizesFree+1]      // coord1 < size1
s_and_b64 s[40:41], s[36:37], s[38:39]             // in0 && in1
s_mov_b64 exec, s[40:41]                           // sgprs -> exec
_v_add_co_u32 v12, vcc, v2, v8                     // addrVgpr = D + index*bytes (lo)
_v_addc_co_u32 v13, vcc, v3, v9, vcc               // addrVgpr = D + index*bytes (hi)
s_mov_b64 exec, -1                                 // full mask -1 -> exec
/* (d1,vc1,d0,vc0)=(5,0,1,0) */
_v_add_co_u32 v6, vcc, v0, 64                      // coord0.1: coord0 += d0*sg0*VW + vc0
GLOBAL_OFFSET_C 16, 6, 1, sgprWorkGroup2, 8
v_mov_b32 v8, v16                                  // temp store offset 0
v_mov_b32 v9, v17                                  // temp store offset 1
v_cmp_lt_u32 s[36:37], v6, s[sgprSizesFree+0]      // coord0 < size0
v_cmp_lt_u32 s[38:39], v1, s[sgprSizesFree+1]      // coord1 < size1
s_and_b64 s[42:43], s[36:37], s[38:39]             // in0 && in1
s_mov_b64 exec, s[42:43]                           // sgprs -> exec
_v_add_co_u32 v16, vcc, v4, v8                     // addrVgpr = C + index*bytes (lo)
_v_addc_co_u32 v17, vcc, v5, v9, vcc               // addrVgpr = C + index*bytes (hi)
_global_load_b32 v15, v[16:17], off, offset:0      // load C for beta calc
GLOBAL_OFFSET_D 16, 6, 1, sgprWorkGroup2, 8
v_mov_b32 v8, v16                                  // temp store offset 0
v_mov_b32 v9, v17                                  // temp store offset 1
v_cmp_lt_u32 s[36:37], v6, s[sgprSizesFree+0]      // coord0 < size0
v_cmp_lt_u32 s[38:39], v1, s[sgprSizesFree+1]      // coord1 < size1
s_and_b64 s[42:43], s[36:37], s[38:39]             // in0 && in1
s_mov_b64 exec, s[42:43]                           // sgprs -> exec
_v_add_co_u32 v16, vcc, v2, v8                     // addrVgpr = D + index*bytes (lo)
_v_addc_co_u32 v17, vcc, v3, v9, vcc               // addrVgpr = D + index*bytes (hi)
s_mov_b64 exec, -1                                 // full mask -1 -> exec
v_accvgpr_read_b32 v[vgprValuC+14], acc36 // copy acc to vreg[40]
v_accvgpr_read_b32 v[vgprValuC+18], acc52 // copy acc to vreg[41]
s_nop 1                                            // 2 wait states required before reading vgpr

/* rC *= alpha batchElements=[(5, 0, 0, 0), (5, 1, 0, 0)] */
v_mul_f32 v[vgprValuC+14], s[sgprAlpha], v[vgprValuC+14] // *= alpha
v_mul_f32 v[vgprValuC+18], s[sgprAlpha], v[vgprValuC+18] // *= alpha
s_waitcnt vmcnt(0)                                 // wait C

/* apply mask, calc new C and issue writes */
s_mov_b64 exec, s[40:41]                           // sgprs -> exec
_v_mac_f32 v[vgprValuC+14], v11, s[sgprBeta]       // finalSum = sum*alpha + C*beta
_global_store_b32 v[12:13], v14, off               // store D
s_mov_b64 exec, s[42:43]                           // sgprs -> exec
_v_mac_f32 v[vgprValuC+18], v15, s[sgprBeta]       // finalSum = sum*alpha + C*beta
_global_store_b32 v[16:17], v18, off               // store D
s_mov_b64 exec, -1                                 // full mask -> exec
s_nop 0                                            // 1 wait state required when next inst writes vgprs held by previous dwordx4 store inst
/* optSingleColVgpr=0 optSharedColVgpr=0 optSGPRUsage=None optSrdIncForRow=0 */

/******************************************/
/* Global Write Alpha Beta Edge Batch #21 (d1,d0,vc1,vc0) = */
/*    (5,0,1,0:vw1); (5,1,1,0:vw1)        */
/******************************************/

/* calc coords, apply mask, and issue loads (if necessary) */
/* (d1,vc1,d0,vc0)=(5,1,0,0) */
_v_add_co_u32 v1, vcc, v1, 1                       // coord1.1: coord1Vgpr += d1*sg1*VW + vc1
GLOBAL_OFFSET_C 12, 0, 1, sgprWorkGroup2, 8
v_mov_b32 v8, v12                                  // temp store offset 0
v_mov_b32 v9, v13                                  // temp store offset 1
v_cmp_lt_u32 s[36:37], v0, s[sgprSizesFree+0]      // coord0 < size0
v_cmp_lt_u32 s[38:39], v1, s[sgprSizesFree+1]      // coord1 < size1
s_and_b64 s[40:41], s[36:37], s[38:39]             // in0 && in1
s_mov_b64 exec, s[40:41]                           // sgprs -> exec
_v_add_co_u32 v12, vcc, v4, v8                     // addrVgpr = C + index*bytes (lo)
_v_addc_co_u32 v13, vcc, v5, v9, vcc               // addrVgpr = C + index*bytes (hi)
_global_load_b32 v11, v[12:13], off, offset:0      // load C for beta calc
GLOBAL_OFFSET_D 12, 0, 1, sgprWorkGroup2, 8
v_mov_b32 v8, v12                                  // temp store offset 0
v_mov_b32 v9, v13                                  // temp store offset 1
v_cmp_lt_u32 s[36:37], v0, s[sgprSizesFree+0]      // coord0 < size0
v_cmp_lt_u32 s[38:39], v1, s[sgprSizesFree+1]      // coord1 < size1
s_and_b64 s[40:41], s[36:37], s[38:39]             // in0 && in1
s_mov_b64 exec, s[40:41]                           // sgprs -> exec
_v_add_co_u32 v12, vcc, v2, v8                     // addrVgpr = D + index*bytes (lo)
_v_addc_co_u32 v13, vcc, v3, v9, vcc               // addrVgpr = D + index*bytes (hi)
s_mov_b64 exec, -1                                 // full mask -1 -> exec
/* (d1,vc1,d0,vc0)=(5,1,1,0) */
_v_add_co_u32 v6, vcc, v0, 64                      // coord0.1: coord0 += d0*sg0*VW + vc0
GLOBAL_OFFSET_C 16, 6, 1, sgprWorkGroup2, 8
v_mov_b32 v8, v16                                  // temp store offset 0
v_mov_b32 v9, v17                                  // temp store offset 1
v_cmp_lt_u32 s[36:37], v6, s[sgprSizesFree+0]      // coord0 < size0
v_cmp_lt_u32 s[38:39], v1, s[sgprSizesFree+1]      // coord1 < size1
s_and_b64 s[42:43], s[36:37], s[38:39]             // in0 && in1
s_mov_b64 exec, s[42:43]                           // sgprs -> exec
_v_add_co_u32 v16, vcc, v4, v8                     // addrVgpr = C + index*bytes (lo)
_v_addc_co_u32 v17, vcc, v5, v9, vcc               // addrVgpr = C + index*bytes (hi)
_global_load_b32 v15, v[16:17], off, offset:0      // load C for beta calc
GLOBAL_OFFSET_D 16, 6, 1, sgprWorkGroup2, 8
v_mov_b32 v8, v16                                  // temp store offset 0
v_mov_b32 v9, v17                                  // temp store offset 1
v_cmp_lt_u32 s[36:37], v6, s[sgprSizesFree+0]      // coord0 < size0
v_cmp_lt_u32 s[38:39], v1, s[sgprSizesFree+1]      // coord1 < size1
s_and_b64 s[42:43], s[36:37], s[38:39]             // in0 && in1
s_mov_b64 exec, s[42:43]                           // sgprs -> exec
_v_add_co_u32 v16, vcc, v2, v8                     // addrVgpr = D + index*bytes (lo)
_v_addc_co_u32 v17, vcc, v3, v9, vcc               // addrVgpr = D + index*bytes (hi)
s_mov_b64 exec, -1                                 // full mask -1 -> exec
v_accvgpr_read_b32 v[vgprValuC+14], acc37 // copy acc to vreg[42]
v_accvgpr_read_b32 v[vgprValuC+18], acc53 // copy acc to vreg[43]
s_nop 1                                            // 2 wait states required before reading vgpr

/* rC *= alpha batchElements=[(5, 0, 1, 0), (5, 1, 1, 0)] */
v_mul_f32 v[vgprValuC+14], s[sgprAlpha], v[vgprValuC+14] // *= alpha
v_mul_f32 v[vgprValuC+18], s[sgprAlpha], v[vgprValuC+18] // *= alpha
s_waitcnt vmcnt(0)                                 // wait C

/* apply mask, calc new C and issue writes */
s_mov_b64 exec, s[40:41]                           // sgprs -> exec
_v_mac_f32 v[vgprValuC+14], v11, s[sgprBeta]       // finalSum = sum*alpha + C*beta
_global_store_b32 v[12:13], v14, off               // store D
s_mov_b64 exec, s[42:43]                           // sgprs -> exec
_v_mac_f32 v[vgprValuC+18], v15, s[sgprBeta]       // finalSum = sum*alpha + C*beta
_global_store_b32 v[16:17], v18, off               // store D
s_mov_b64 exec, -1                                 // full mask -> exec
s_nop 0                                            // 1 wait state required when next inst writes vgprs held by previous dwordx4 store inst
/* optSingleColVgpr=0 optSharedColVgpr=0 optSGPRUsage=None optSrdIncForRow=0 */

/******************************************/
/* Global Write Alpha Beta Edge Batch #22 (d1,d0,vc1,vc0) = */
/*    (5,0,2,0:vw1); (5,1,2,0:vw1)        */
/******************************************/

/* calc coords, apply mask, and issue loads (if necessary) */
/* (d1,vc1,d0,vc0)=(5,2,0,0) */
_v_add_co_u32 v1, vcc, v1, 1                       // coord1.1: coord1Vgpr += d1*sg1*VW + vc1
GLOBAL_OFFSET_C 12, 0, 1, sgprWorkGroup2, 8
v_mov_b32 v8, v12                                  // temp store offset 0
v_mov_b32 v9, v13                                  // temp store offset 1
v_cmp_lt_u32 s[36:37], v0, s[sgprSizesFree+0]      // coord0 < size0
v_cmp_lt_u32 s[38:39], v1, s[sgprSizesFree+1]      // coord1 < size1
s_and_b64 s[40:41], s[36:37], s[38:39]             // in0 && in1
s_mov_b64 exec, s[40:41]                           // sgprs -> exec
_v_add_co_u32 v12, vcc, v4, v8                     // addrVgpr = C + index*bytes (lo)
_v_addc_co_u32 v13, vcc, v5, v9, vcc               // addrVgpr = C + index*bytes (hi)
_global_load_b32 v11, v[12:13], off, offset:0      // load C for beta calc
GLOBAL_OFFSET_D 12, 0, 1, sgprWorkGroup2, 8
v_mov_b32 v8, v12                                  // temp store offset 0
v_mov_b32 v9, v13                                  // temp store offset 1
v_cmp_lt_u32 s[36:37], v0, s[sgprSizesFree+0]      // coord0 < size0
v_cmp_lt_u32 s[38:39], v1, s[sgprSizesFree+1]      // coord1 < size1
s_and_b64 s[40:41], s[36:37], s[38:39]             // in0 && in1
s_mov_b64 exec, s[40:41]                           // sgprs -> exec
_v_add_co_u32 v12, vcc, v2, v8                     // addrVgpr = D + index*bytes (lo)
_v_addc_co_u32 v13, vcc, v3, v9, vcc               // addrVgpr = D + index*bytes (hi)
s_mov_b64 exec, -1                                 // full mask -1 -> exec
/* (d1,vc1,d0,vc0)=(5,2,1,0) */
_v_add_co_u32 v6, vcc, v0, 64                      // coord0.1: coord0 += d0*sg0*VW + vc0
GLOBAL_OFFSET_C 16, 6, 1, sgprWorkGroup2, 8
v_mov_b32 v8, v16                                  // temp store offset 0
v_mov_b32 v9, v17                                  // temp store offset 1
v_cmp_lt_u32 s[36:37], v6, s[sgprSizesFree+0]      // coord0 < size0
v_cmp_lt_u32 s[38:39], v1, s[sgprSizesFree+1]      // coord1 < size1
s_and_b64 s[42:43], s[36:37], s[38:39]             // in0 && in1
s_mov_b64 exec, s[42:43]                           // sgprs -> exec
_v_add_co_u32 v16, vcc, v4, v8                     // addrVgpr = C + index*bytes (lo)
_v_addc_co_u32 v17, vcc, v5, v9, vcc               // addrVgpr = C + index*bytes (hi)
_global_load_b32 v15, v[16:17], off, offset:0      // load C for beta calc
GLOBAL_OFFSET_D 16, 6, 1, sgprWorkGroup2, 8
v_mov_b32 v8, v16                                  // temp store offset 0
v_mov_b32 v9, v17                                  // temp store offset 1
v_cmp_lt_u32 s[36:37], v6, s[sgprSizesFree+0]      // coord0 < size0
v_cmp_lt_u32 s[38:39], v1, s[sgprSizesFree+1]      // coord1 < size1
s_and_b64 s[42:43], s[36:37], s[38:39]             // in0 && in1
s_mov_b64 exec, s[42:43]                           // sgprs -> exec
_v_add_co_u32 v16, vcc, v2, v8                     // addrVgpr = D + index*bytes (lo)
_v_addc_co_u32 v17, vcc, v3, v9, vcc               // addrVgpr = D + index*bytes (hi)
s_mov_b64 exec, -1                                 // full mask -1 -> exec
v_accvgpr_read_b32 v[vgprValuC+14], acc38 // copy acc to vreg[44]
v_accvgpr_read_b32 v[vgprValuC+18], acc54 // copy acc to vreg[45]
s_nop 1                                            // 2 wait states required before reading vgpr

/* rC *= alpha batchElements=[(5, 0, 2, 0), (5, 1, 2, 0)] */
v_mul_f32 v[vgprValuC+14], s[sgprAlpha], v[vgprValuC+14] // *= alpha
v_mul_f32 v[vgprValuC+18], s[sgprAlpha], v[vgprValuC+18] // *= alpha
s_waitcnt vmcnt(0)                                 // wait C

/* apply mask, calc new C and issue writes */
s_mov_b64 exec, s[40:41]                           // sgprs -> exec
_v_mac_f32 v[vgprValuC+14], v11, s[sgprBeta]       // finalSum = sum*alpha + C*beta
_global_store_b32 v[12:13], v14, off               // store D
s_mov_b64 exec, s[42:43]                           // sgprs -> exec
_v_mac_f32 v[vgprValuC+18], v15, s[sgprBeta]       // finalSum = sum*alpha + C*beta
_global_store_b32 v[16:17], v18, off               // store D
s_mov_b64 exec, -1                                 // full mask -> exec
s_nop 0                                            // 1 wait state required when next inst writes vgprs held by previous dwordx4 store inst
/* optSingleColVgpr=0 optSharedColVgpr=0 optSGPRUsage=None optSrdIncForRow=0 */

/******************************************/
/* Global Write Alpha Beta Edge Batch #23 (d1,d0,vc1,vc0) = */
/*    (5,0,3,0:vw1); (5,1,3,0:vw1)        */
/******************************************/

/* calc coords, apply mask, and issue loads (if necessary) */
/* (d1,vc1,d0,vc0)=(5,3,0,0) */
_v_add_co_u32 v1, vcc, v1, 1                       // coord1.1: coord1Vgpr += d1*sg1*VW + vc1
GLOBAL_OFFSET_C 12, 0, 1, sgprWorkGroup2, 8
v_mov_b32 v8, v12                                  // temp store offset 0
v_mov_b32 v9, v13                                  // temp store offset 1
v_cmp_lt_u32 s[36:37], v0, s[sgprSizesFree+0]      // coord0 < size0
v_cmp_lt_u32 s[38:39], v1, s[sgprSizesFree+1]      // coord1 < size1
s_and_b64 s[40:41], s[36:37], s[38:39]             // in0 && in1
s_mov_b64 exec, s[40:41]                           // sgprs -> exec
_v_add_co_u32 v12, vcc, v4, v8                     // addrVgpr = C + index*bytes (lo)
_v_addc_co_u32 v13, vcc, v5, v9, vcc               // addrVgpr = C + index*bytes (hi)
_global_load_b32 v11, v[12:13], off, offset:0      // load C for beta calc
GLOBAL_OFFSET_D 12, 0, 1, sgprWorkGroup2, 8
v_mov_b32 v8, v12                                  // temp store offset 0
v_mov_b32 v9, v13                                  // temp store offset 1
v_cmp_lt_u32 s[36:37], v0, s[sgprSizesFree+0]      // coord0 < size0
v_cmp_lt_u32 s[38:39], v1, s[sgprSizesFree+1]      // coord1 < size1
s_and_b64 s[40:41], s[36:37], s[38:39]             // in0 && in1
s_mov_b64 exec, s[40:41]                           // sgprs -> exec
_v_add_co_u32 v12, vcc, v2, v8                     // addrVgpr = D + index*bytes (lo)
_v_addc_co_u32 v13, vcc, v3, v9, vcc               // addrVgpr = D + index*bytes (hi)
s_mov_b64 exec, -1                                 // full mask -1 -> exec
/* (d1,vc1,d0,vc0)=(5,3,1,0) */
_v_add_co_u32 v6, vcc, v0, 64                      // coord0.1: coord0 += d0*sg0*VW + vc0
GLOBAL_OFFSET_C 16, 6, 1, sgprWorkGroup2, 8
v_mov_b32 v8, v16                                  // temp store offset 0
v_mov_b32 v9, v17                                  // temp store offset 1
v_cmp_lt_u32 s[36:37], v6, s[sgprSizesFree+0]      // coord0 < size0
v_cmp_lt_u32 s[38:39], v1, s[sgprSizesFree+1]      // coord1 < size1
s_and_b64 s[42:43], s[36:37], s[38:39]             // in0 && in1
s_mov_b64 exec, s[42:43]                           // sgprs -> exec
_v_add_co_u32 v16, vcc, v4, v8                     // addrVgpr = C + index*bytes (lo)
_v_addc_co_u32 v17, vcc, v5, v9, vcc               // addrVgpr = C + index*bytes (hi)
_global_load_b32 v15, v[16:17], off, offset:0      // load C for beta calc
GLOBAL_OFFSET_D 16, 6, 1, sgprWorkGroup2, 8
v_mov_b32 v8, v16                                  // temp store offset 0
v_mov_b32 v9, v17                                  // temp store offset 1
v_cmp_lt_u32 s[36:37], v6, s[sgprSizesFree+0]      // coord0 < size0
v_cmp_lt_u32 s[38:39], v1, s[sgprSizesFree+1]      // coord1 < size1
s_and_b64 s[42:43], s[36:37], s[38:39]             // in0 && in1
s_mov_b64 exec, s[42:43]                           // sgprs -> exec
_v_add_co_u32 v16, vcc, v2, v8                     // addrVgpr = D + index*bytes (lo)
_v_addc_co_u32 v17, vcc, v3, v9, vcc               // addrVgpr = D + index*bytes (hi)
s_mov_b64 exec, -1                                 // full mask -1 -> exec
v_accvgpr_read_b32 v[vgprValuC+14], acc39 // copy acc to vreg[46]
v_accvgpr_read_b32 v[vgprValuC+18], acc55 // copy acc to vreg[47]
s_nop 1                                            // 2 wait states required before reading vgpr

/* rC *= alpha batchElements=[(5, 0, 3, 0), (5, 1, 3, 0)] */
v_mul_f32 v[vgprValuC+14], s[sgprAlpha], v[vgprValuC+14] // *= alpha
v_mul_f32 v[vgprValuC+18], s[sgprAlpha], v[vgprValuC+18] // *= alpha
s_waitcnt vmcnt(0)                                 // wait C

/* apply mask, calc new C and issue writes */
s_mov_b64 exec, s[40:41]                           // sgprs -> exec
_v_mac_f32 v[vgprValuC+14], v11, s[sgprBeta]       // finalSum = sum*alpha + C*beta
_global_store_b32 v[12:13], v14, off               // store D
s_mov_b64 exec, s[42:43]                           // sgprs -> exec
_v_mac_f32 v[vgprValuC+18], v15, s[sgprBeta]       // finalSum = sum*alpha + C*beta
_global_store_b32 v[16:17], v18, off               // store D
s_mov_b64 exec, -1                                 // full mask -> exec
s_nop 0                                            // 1 wait state required when next inst writes vgprs held by previous dwordx4 store inst
/* optSingleColVgpr=0 optSharedColVgpr=0 optSGPRUsage=None optSrdIncForRow=0 */

/******************************************/
/* Global Write Alpha Beta Edge Batch #24 (d1,d0,vc1,vc0) = */
/*    (6,0,0,0:vw1); (6,1,0,0:vw1)        */
/******************************************/

/* calc coords, apply mask, and issue loads (if necessary) */
/* (d1,vc1,d0,vc0)=(6,0,0,0) */
_v_add_co_u32 v1, vcc, v1, 5                       // coord1.1: coord1Vgpr += d1*sg1*VW + vc1
GLOBAL_OFFSET_C 12, 0, 1, sgprWorkGroup2, 8
v_mov_b32 v8, v12                                  // temp store offset 0
v_mov_b32 v9, v13                                  // temp store offset 1
v_cmp_lt_u32 s[36:37], v0, s[sgprSizesFree+0]      // coord0 < size0
v_cmp_lt_u32 s[38:39], v1, s[sgprSizesFree+1]      // coord1 < size1
s_and_b64 s[40:41], s[36:37], s[38:39]             // in0 && in1
s_mov_b64 exec, s[40:41]                           // sgprs -> exec
_v_add_co_u32 v12, vcc, v4, v8                     // addrVgpr = C + index*bytes (lo)
_v_addc_co_u32 v13, vcc, v5, v9, vcc               // addrVgpr = C + index*bytes (hi)
_global_load_b32 v11, v[12:13], off, offset:0      // load C for beta calc
GLOBAL_OFFSET_D 12, 0, 1, sgprWorkGroup2, 8
v_mov_b32 v8, v12                                  // temp store offset 0
v_mov_b32 v9, v13                                  // temp store offset 1
v_cmp_lt_u32 s[36:37], v0, s[sgprSizesFree+0]      // coord0 < size0
v_cmp_lt_u32 s[38:39], v1, s[sgprSizesFree+1]      // coord1 < size1
s_and_b64 s[40:41], s[36:37], s[38:39]             // in0 && in1
s_mov_b64 exec, s[40:41]                           // sgprs -> exec
_v_add_co_u32 v12, vcc, v2, v8                     // addrVgpr = D + index*bytes (lo)
_v_addc_co_u32 v13, vcc, v3, v9, vcc               // addrVgpr = D + index*bytes (hi)
s_mov_b64 exec, -1                                 // full mask -1 -> exec
/* (d1,vc1,d0,vc0)=(6,0,1,0) */
_v_add_co_u32 v6, vcc, v0, 64                      // coord0.1: coord0 += d0*sg0*VW + vc0
GLOBAL_OFFSET_C 16, 6, 1, sgprWorkGroup2, 8
v_mov_b32 v8, v16                                  // temp store offset 0
v_mov_b32 v9, v17                                  // temp store offset 1
v_cmp_lt_u32 s[36:37], v6, s[sgprSizesFree+0]      // coord0 < size0
v_cmp_lt_u32 s[38:39], v1, s[sgprSizesFree+1]      // coord1 < size1
s_and_b64 s[42:43], s[36:37], s[38:39]             // in0 && in1
s_mov_b64 exec, s[42:43]                           // sgprs -> exec
_v_add_co_u32 v16, vcc, v4, v8                     // addrVgpr = C + index*bytes (lo)
_v_addc_co_u32 v17, vcc, v5, v9, vcc               // addrVgpr = C + index*bytes (hi)
_global_load_b32 v15, v[16:17], off, offset:0      // load C for beta calc
GLOBAL_OFFSET_D 16, 6, 1, sgprWorkGroup2, 8
v_mov_b32 v8, v16                                  // temp store offset 0
v_mov_b32 v9, v17                                  // temp store offset 1
v_cmp_lt_u32 s[36:37], v6, s[sgprSizesFree+0]      // coord0 < size0
v_cmp_lt_u32 s[38:39], v1, s[sgprSizesFree+1]      // coord1 < size1
s_and_b64 s[42:43], s[36:37], s[38:39]             // in0 && in1
s_mov_b64 exec, s[42:43]                           // sgprs -> exec
_v_add_co_u32 v16, vcc, v2, v8                     // addrVgpr = D + index*bytes (lo)
_v_addc_co_u32 v17, vcc, v3, v9, vcc               // addrVgpr = D + index*bytes (hi)
s_mov_b64 exec, -1                                 // full mask -1 -> exec
v_accvgpr_read_b32 v[vgprValuC+14], acc40 // copy acc to vreg[48]
v_accvgpr_read_b32 v[vgprValuC+18], acc56 // copy acc to vreg[49]
s_nop 1                                            // 2 wait states required before reading vgpr

/* rC *= alpha batchElements=[(6, 0, 0, 0), (6, 1, 0, 0)] */
v_mul_f32 v[vgprValuC+14], s[sgprAlpha], v[vgprValuC+14] // *= alpha
v_mul_f32 v[vgprValuC+18], s[sgprAlpha], v[vgprValuC+18] // *= alpha
s_waitcnt vmcnt(0)                                 // wait C

/* apply mask, calc new C and issue writes */
s_mov_b64 exec, s[40:41]                           // sgprs -> exec
_v_mac_f32 v[vgprValuC+14], v11, s[sgprBeta]       // finalSum = sum*alpha + C*beta
_global_store_b32 v[12:13], v14, off               // store D
s_mov_b64 exec, s[42:43]                           // sgprs -> exec
_v_mac_f32 v[vgprValuC+18], v15, s[sgprBeta]       // finalSum = sum*alpha + C*beta
_global_store_b32 v[16:17], v18, off               // store D
s_mov_b64 exec, -1                                 // full mask -> exec
s_nop 0                                            // 1 wait state required when next inst writes vgprs held by previous dwordx4 store inst
/* optSingleColVgpr=0 optSharedColVgpr=0 optSGPRUsage=None optSrdIncForRow=0 */

/******************************************/
/* Global Write Alpha Beta Edge Batch #25 (d1,d0,vc1,vc0) = */
/*    (6,0,1,0:vw1); (6,1,1,0:vw1)        */
/******************************************/

/* calc coords, apply mask, and issue loads (if necessary) */
/* (d1,vc1,d0,vc0)=(6,1,0,0) */
_v_add_co_u32 v1, vcc, v1, 1                       // coord1.1: coord1Vgpr += d1*sg1*VW + vc1
GLOBAL_OFFSET_C 12, 0, 1, sgprWorkGroup2, 8
v_mov_b32 v8, v12                                  // temp store offset 0
v_mov_b32 v9, v13                                  // temp store offset 1
v_cmp_lt_u32 s[36:37], v0, s[sgprSizesFree+0]      // coord0 < size0
v_cmp_lt_u32 s[38:39], v1, s[sgprSizesFree+1]      // coord1 < size1
s_and_b64 s[40:41], s[36:37], s[38:39]             // in0 && in1
s_mov_b64 exec, s[40:41]                           // sgprs -> exec
_v_add_co_u32 v12, vcc, v4, v8                     // addrVgpr = C + index*bytes (lo)
_v_addc_co_u32 v13, vcc, v5, v9, vcc               // addrVgpr = C + index*bytes (hi)
_global_load_b32 v11, v[12:13], off, offset:0      // load C for beta calc
GLOBAL_OFFSET_D 12, 0, 1, sgprWorkGroup2, 8
v_mov_b32 v8, v12                                  // temp store offset 0
v_mov_b32 v9, v13                                  // temp store offset 1
v_cmp_lt_u32 s[36:37], v0, s[sgprSizesFree+0]      // coord0 < size0
v_cmp_lt_u32 s[38:39], v1, s[sgprSizesFree+1]      // coord1 < size1
s_and_b64 s[40:41], s[36:37], s[38:39]             // in0 && in1
s_mov_b64 exec, s[40:41]                           // sgprs -> exec
_v_add_co_u32 v12, vcc, v2, v8                     // addrVgpr = D + index*bytes (lo)
_v_addc_co_u32 v13, vcc, v3, v9, vcc               // addrVgpr = D + index*bytes (hi)
s_mov_b64 exec, -1                                 // full mask -1 -> exec
/* (d1,vc1,d0,vc0)=(6,1,1,0) */
_v_add_co_u32 v6, vcc, v0, 64                      // coord0.1: coord0 += d0*sg0*VW + vc0
GLOBAL_OFFSET_C 16, 6, 1, sgprWorkGroup2, 8
v_mov_b32 v8, v16                                  // temp store offset 0
v_mov_b32 v9, v17                                  // temp store offset 1
v_cmp_lt_u32 s[36:37], v6, s[sgprSizesFree+0]      // coord0 < size0
v_cmp_lt_u32 s[38:39], v1, s[sgprSizesFree+1]      // coord1 < size1
s_and_b64 s[42:43], s[36:37], s[38:39]             // in0 && in1
s_mov_b64 exec, s[42:43]                           // sgprs -> exec
_v_add_co_u32 v16, vcc, v4, v8                     // addrVgpr = C + index*bytes (lo)
_v_addc_co_u32 v17, vcc, v5, v9, vcc               // addrVgpr = C + index*bytes (hi)
_global_load_b32 v15, v[16:17], off, offset:0      // load C for beta calc
GLOBAL_OFFSET_D 16, 6, 1, sgprWorkGroup2, 8
v_mov_b32 v8, v16                                  // temp store offset 0
v_mov_b32 v9, v17                                  // temp store offset 1
v_cmp_lt_u32 s[36:37], v6, s[sgprSizesFree+0]      // coord0 < size0
v_cmp_lt_u32 s[38:39], v1, s[sgprSizesFree+1]      // coord1 < size1
s_and_b64 s[42:43], s[36:37], s[38:39]             // in0 && in1
s_mov_b64 exec, s[42:43]                           // sgprs -> exec
_v_add_co_u32 v16, vcc, v2, v8                     // addrVgpr = D + index*bytes (lo)
_v_addc_co_u32 v17, vcc, v3, v9, vcc               // addrVgpr = D + index*bytes (hi)
s_mov_b64 exec, -1                                 // full mask -1 -> exec
v_accvgpr_read_b32 v[vgprValuC+14], acc41 // copy acc to vreg[50]
v_accvgpr_read_b32 v[vgprValuC+18], acc57 // copy acc to vreg[51]
s_nop 1                                            // 2 wait states required before reading vgpr

/* rC *= alpha batchElements=[(6, 0, 1, 0), (6, 1, 1, 0)] */
v_mul_f32 v[vgprValuC+14], s[sgprAlpha], v[vgprValuC+14] // *= alpha
v_mul_f32 v[vgprValuC+18], s[sgprAlpha], v[vgprValuC+18] // *= alpha
s_waitcnt vmcnt(0)                                 // wait C

/* apply mask, calc new C and issue writes */
s_mov_b64 exec, s[40:41]                           // sgprs -> exec
_v_mac_f32 v[vgprValuC+14], v11, s[sgprBeta]       // finalSum = sum*alpha + C*beta
_global_store_b32 v[12:13], v14, off               // store D
s_mov_b64 exec, s[42:43]                           // sgprs -> exec
_v_mac_f32 v[vgprValuC+18], v15, s[sgprBeta]       // finalSum = sum*alpha + C*beta
_global_store_b32 v[16:17], v18, off               // store D
s_mov_b64 exec, -1                                 // full mask -> exec
s_nop 0                                            // 1 wait state required when next inst writes vgprs held by previous dwordx4 store inst
/* optSingleColVgpr=0 optSharedColVgpr=0 optSGPRUsage=None optSrdIncForRow=0 */

/******************************************/
/* Global Write Alpha Beta Edge Batch #26 (d1,d0,vc1,vc0) = */
/*    (6,0,2,0:vw1); (6,1,2,0:vw1)        */
/******************************************/

/* calc coords, apply mask, and issue loads (if necessary) */
/* (d1,vc1,d0,vc0)=(6,2,0,0) */
_v_add_co_u32 v1, vcc, v1, 1                       // coord1.1: coord1Vgpr += d1*sg1*VW + vc1
GLOBAL_OFFSET_C 12, 0, 1, sgprWorkGroup2, 8
v_mov_b32 v8, v12                                  // temp store offset 0
v_mov_b32 v9, v13                                  // temp store offset 1
v_cmp_lt_u32 s[36:37], v0, s[sgprSizesFree+0]      // coord0 < size0
v_cmp_lt_u32 s[38:39], v1, s[sgprSizesFree+1]      // coord1 < size1
s_and_b64 s[40:41], s[36:37], s[38:39]             // in0 && in1
s_mov_b64 exec, s[40:41]                           // sgprs -> exec
_v_add_co_u32 v12, vcc, v4, v8                     // addrVgpr = C + index*bytes (lo)
_v_addc_co_u32 v13, vcc, v5, v9, vcc               // addrVgpr = C + index*bytes (hi)
_global_load_b32 v11, v[12:13], off, offset:0      // load C for beta calc
GLOBAL_OFFSET_D 12, 0, 1, sgprWorkGroup2, 8
v_mov_b32 v8, v12                                  // temp store offset 0
v_mov_b32 v9, v13                                  // temp store offset 1
v_cmp_lt_u32 s[36:37], v0, s[sgprSizesFree+0]      // coord0 < size0
v_cmp_lt_u32 s[38:39], v1, s[sgprSizesFree+1]      // coord1 < size1
s_and_b64 s[40:41], s[36:37], s[38:39]             // in0 && in1
s_mov_b64 exec, s[40:41]                           // sgprs -> exec
_v_add_co_u32 v12, vcc, v2, v8                     // addrVgpr = D + index*bytes (lo)
_v_addc_co_u32 v13, vcc, v3, v9, vcc               // addrVgpr = D + index*bytes (hi)
s_mov_b64 exec, -1                                 // full mask -1 -> exec
/* (d1,vc1,d0,vc0)=(6,2,1,0) */
_v_add_co_u32 v6, vcc, v0, 64                      // coord0.1: coord0 += d0*sg0*VW + vc0
GLOBAL_OFFSET_C 16, 6, 1, sgprWorkGroup2, 8
v_mov_b32 v8, v16                                  // temp store offset 0
v_mov_b32 v9, v17                                  // temp store offset 1
v_cmp_lt_u32 s[36:37], v6, s[sgprSizesFree+0]      // coord0 < size0
v_cmp_lt_u32 s[38:39], v1, s[sgprSizesFree+1]      // coord1 < size1
s_and_b64 s[42:43], s[36:37], s[38:39]             // in0 && in1
s_mov_b64 exec, s[42:43]                           // sgprs -> exec
_v_add_co_u32 v16, vcc, v4, v8                     // addrVgpr = C + index*bytes (lo)
_v_addc_co_u32 v17, vcc, v5, v9, vcc               // addrVgpr = C + index*bytes (hi)
_global_load_b32 v15, v[16:17], off, offset:0      // load C for beta calc
GLOBAL_OFFSET_D 16, 6, 1, sgprWorkGroup2, 8
v_mov_b32 v8, v16                                  // temp store offset 0
v_mov_b32 v9, v17                                  // temp store offset 1
v_cmp_lt_u32 s[36:37], v6, s[sgprSizesFree+0]      // coord0 < size0
v_cmp_lt_u32 s[38:39], v1, s[sgprSizesFree+1]      // coord1 < size1
s_and_b64 s[42:43], s[36:37], s[38:39]             // in0 && in1
s_mov_b64 exec, s[42:43]                           // sgprs -> exec
_v_add_co_u32 v16, vcc, v2, v8                     // addrVgpr = D + index*bytes (lo)
_v_addc_co_u32 v17, vcc, v3, v9, vcc               // addrVgpr = D + index*bytes (hi)
s_mov_b64 exec, -1                                 // full mask -1 -> exec
v_accvgpr_read_b32 v[vgprValuC+14], acc42 // copy acc to vreg[52]
v_accvgpr_read_b32 v[vgprValuC+18], acc58 // copy acc to vreg[53]
s_nop 1                                            // 2 wait states required before reading vgpr

/* rC *= alpha batchElements=[(6, 0, 2, 0), (6, 1, 2, 0)] */
v_mul_f32 v[vgprValuC+14], s[sgprAlpha], v[vgprValuC+14] // *= alpha
v_mul_f32 v[vgprValuC+18], s[sgprAlpha], v[vgprValuC+18] // *= alpha
s_waitcnt vmcnt(0)                                 // wait C

/* apply mask, calc new C and issue writes */
s_mov_b64 exec, s[40:41]                           // sgprs -> exec
_v_mac_f32 v[vgprValuC+14], v11, s[sgprBeta]       // finalSum = sum*alpha + C*beta
_global_store_b32 v[12:13], v14, off               // store D
s_mov_b64 exec, s[42:43]                           // sgprs -> exec
_v_mac_f32 v[vgprValuC+18], v15, s[sgprBeta]       // finalSum = sum*alpha + C*beta
_global_store_b32 v[16:17], v18, off               // store D
s_mov_b64 exec, -1                                 // full mask -> exec
s_nop 0                                            // 1 wait state required when next inst writes vgprs held by previous dwordx4 store inst
/* optSingleColVgpr=0 optSharedColVgpr=0 optSGPRUsage=None optSrdIncForRow=0 */

/******************************************/
/* Global Write Alpha Beta Edge Batch #27 (d1,d0,vc1,vc0) = */
/*    (6,0,3,0:vw1); (6,1,3,0:vw1)        */
/******************************************/

/* calc coords, apply mask, and issue loads (if necessary) */
/* (d1,vc1,d0,vc0)=(6,3,0,0) */
_v_add_co_u32 v1, vcc, v1, 1                       // coord1.1: coord1Vgpr += d1*sg1*VW + vc1
GLOBAL_OFFSET_C 12, 0, 1, sgprWorkGroup2, 8
v_mov_b32 v8, v12                                  // temp store offset 0
v_mov_b32 v9, v13                                  // temp store offset 1
v_cmp_lt_u32 s[36:37], v0, s[sgprSizesFree+0]      // coord0 < size0
v_cmp_lt_u32 s[38:39], v1, s[sgprSizesFree+1]      // coord1 < size1
s_and_b64 s[40:41], s[36:37], s[38:39]             // in0 && in1
s_mov_b64 exec, s[40:41]                           // sgprs -> exec
_v_add_co_u32 v12, vcc, v4, v8                     // addrVgpr = C + index*bytes (lo)
_v_addc_co_u32 v13, vcc, v5, v9, vcc               // addrVgpr = C + index*bytes (hi)
_global_load_b32 v11, v[12:13], off, offset:0      // load C for beta calc
GLOBAL_OFFSET_D 12, 0, 1, sgprWorkGroup2, 8
v_mov_b32 v8, v12                                  // temp store offset 0
v_mov_b32 v9, v13                                  // temp store offset 1
v_cmp_lt_u32 s[36:37], v0, s[sgprSizesFree+0]      // coord0 < size0
v_cmp_lt_u32 s[38:39], v1, s[sgprSizesFree+1]      // coord1 < size1
s_and_b64 s[40:41], s[36:37], s[38:39]             // in0 && in1
s_mov_b64 exec, s[40:41]                           // sgprs -> exec
_v_add_co_u32 v12, vcc, v2, v8                     // addrVgpr = D + index*bytes (lo)
_v_addc_co_u32 v13, vcc, v3, v9, vcc               // addrVgpr = D + index*bytes (hi)
s_mov_b64 exec, -1                                 // full mask -1 -> exec
/* (d1,vc1,d0,vc0)=(6,3,1,0) */
_v_add_co_u32 v6, vcc, v0, 64                      // coord0.1: coord0 += d0*sg0*VW + vc0
GLOBAL_OFFSET_C 16, 6, 1, sgprWorkGroup2, 8
v_mov_b32 v8, v16                                  // temp store offset 0
v_mov_b32 v9, v17                                  // temp store offset 1
v_cmp_lt_u32 s[36:37], v6, s[sgprSizesFree+0]      // coord0 < size0
v_cmp_lt_u32 s[38:39], v1, s[sgprSizesFree+1]      // coord1 < size1
s_and_b64 s[42:43], s[36:37], s[38:39]             // in0 && in1
s_mov_b64 exec, s[42:43]                           // sgprs -> exec
_v_add_co_u32 v16, vcc, v4, v8                     // addrVgpr = C + index*bytes (lo)
_v_addc_co_u32 v17, vcc, v5, v9, vcc               // addrVgpr = C + index*bytes (hi)
_global_load_b32 v15, v[16:17], off, offset:0      // load C for beta calc
GLOBAL_OFFSET_D 16, 6, 1, sgprWorkGroup2, 8
v_mov_b32 v8, v16                                  // temp store offset 0
v_mov_b32 v9, v17                                  // temp store offset 1
v_cmp_lt_u32 s[36:37], v6, s[sgprSizesFree+0]      // coord0 < size0
v_cmp_lt_u32 s[38:39], v1, s[sgprSizesFree+1]      // coord1 < size1
s_and_b64 s[42:43], s[36:37], s[38:39]             // in0 && in1
s_mov_b64 exec, s[42:43]                           // sgprs -> exec
_v_add_co_u32 v16, vcc, v2, v8                     // addrVgpr = D + index*bytes (lo)
_v_addc_co_u32 v17, vcc, v3, v9, vcc               // addrVgpr = D + index*bytes (hi)
s_mov_b64 exec, -1                                 // full mask -1 -> exec
v_accvgpr_read_b32 v[vgprValuC+14], acc43 // copy acc to vreg[54]
v_accvgpr_read_b32 v[vgprValuC+18], acc59 // copy acc to vreg[55]
s_nop 1                                            // 2 wait states required before reading vgpr

/* rC *= alpha batchElements=[(6, 0, 3, 0), (6, 1, 3, 0)] */
v_mul_f32 v[vgprValuC+14], s[sgprAlpha], v[vgprValuC+14] // *= alpha
v_mul_f32 v[vgprValuC+18], s[sgprAlpha], v[vgprValuC+18] // *= alpha
s_waitcnt vmcnt(0)                                 // wait C

/* apply mask, calc new C and issue writes */
s_mov_b64 exec, s[40:41]                           // sgprs -> exec
_v_mac_f32 v[vgprValuC+14], v11, s[sgprBeta]       // finalSum = sum*alpha + C*beta
_global_store_b32 v[12:13], v14, off               // store D
s_mov_b64 exec, s[42:43]                           // sgprs -> exec
_v_mac_f32 v[vgprValuC+18], v15, s[sgprBeta]       // finalSum = sum*alpha + C*beta
_global_store_b32 v[16:17], v18, off               // store D
s_mov_b64 exec, -1                                 // full mask -> exec
s_nop 0                                            // 1 wait state required when next inst writes vgprs held by previous dwordx4 store inst
/* optSingleColVgpr=0 optSharedColVgpr=0 optSGPRUsage=None optSrdIncForRow=0 */

/******************************************/
/* Global Write Alpha Beta Edge Batch #28 (d1,d0,vc1,vc0) = */
/*    (7,0,0,0:vw1); (7,1,0,0:vw1)        */
/******************************************/

/* calc coords, apply mask, and issue loads (if necessary) */
/* (d1,vc1,d0,vc0)=(7,0,0,0) */
_v_add_co_u32 v1, vcc, v1, 5                       // coord1.1: coord1Vgpr += d1*sg1*VW + vc1
GLOBAL_OFFSET_C 12, 0, 1, sgprWorkGroup2, 8
v_mov_b32 v8, v12                                  // temp store offset 0
v_mov_b32 v9, v13                                  // temp store offset 1
v_cmp_lt_u32 s[36:37], v0, s[sgprSizesFree+0]      // coord0 < size0
v_cmp_lt_u32 s[38:39], v1, s[sgprSizesFree+1]      // coord1 < size1
s_and_b64 s[40:41], s[36:37], s[38:39]             // in0 && in1
s_mov_b64 exec, s[40:41]                           // sgprs -> exec
_v_add_co_u32 v12, vcc, v4, v8                     // addrVgpr = C + index*bytes (lo)
_v_addc_co_u32 v13, vcc, v5, v9, vcc               // addrVgpr = C + index*bytes (hi)
_global_load_b32 v11, v[12:13], off, offset:0      // load C for beta calc
GLOBAL_OFFSET_D 12, 0, 1, sgprWorkGroup2, 8
v_mov_b32 v8, v12                                  // temp store offset 0
v_mov_b32 v9, v13                                  // temp store offset 1
v_cmp_lt_u32 s[36:37], v0, s[sgprSizesFree+0]      // coord0 < size0
v_cmp_lt_u32 s[38:39], v1, s[sgprSizesFree+1]      // coord1 < size1
s_and_b64 s[40:41], s[36:37], s[38:39]             // in0 && in1
s_mov_b64 exec, s[40:41]                           // sgprs -> exec
_v_add_co_u32 v12, vcc, v2, v8                     // addrVgpr = D + index*bytes (lo)
_v_addc_co_u32 v13, vcc, v3, v9, vcc               // addrVgpr = D + index*bytes (hi)
s_mov_b64 exec, -1                                 // full mask -1 -> exec
/* (d1,vc1,d0,vc0)=(7,0,1,0) */
_v_add_co_u32 v6, vcc, v0, 64                      // coord0.1: coord0 += d0*sg0*VW + vc0
GLOBAL_OFFSET_C 16, 6, 1, sgprWorkGroup2, 8
v_mov_b32 v8, v16                                  // temp store offset 0
v_mov_b32 v9, v17                                  // temp store offset 1
v_cmp_lt_u32 s[36:37], v6, s[sgprSizesFree+0]      // coord0 < size0
v_cmp_lt_u32 s[38:39], v1, s[sgprSizesFree+1]      // coord1 < size1
s_and_b64 s[42:43], s[36:37], s[38:39]             // in0 && in1
s_mov_b64 exec, s[42:43]                           // sgprs -> exec
_v_add_co_u32 v16, vcc, v4, v8                     // addrVgpr = C + index*bytes (lo)
_v_addc_co_u32 v17, vcc, v5, v9, vcc               // addrVgpr = C + index*bytes (hi)
_global_load_b32 v15, v[16:17], off, offset:0      // load C for beta calc
GLOBAL_OFFSET_D 16, 6, 1, sgprWorkGroup2, 8
v_mov_b32 v8, v16                                  // temp store offset 0
v_mov_b32 v9, v17                                  // temp store offset 1
v_cmp_lt_u32 s[36:37], v6, s[sgprSizesFree+0]      // coord0 < size0
v_cmp_lt_u32 s[38:39], v1, s[sgprSizesFree+1]      // coord1 < size1
s_and_b64 s[42:43], s[36:37], s[38:39]             // in0 && in1
s_mov_b64 exec, s[42:43]                           // sgprs -> exec
_v_add_co_u32 v16, vcc, v2, v8                     // addrVgpr = D + index*bytes (lo)
_v_addc_co_u32 v17, vcc, v3, v9, vcc               // addrVgpr = D + index*bytes (hi)
s_mov_b64 exec, -1                                 // full mask -1 -> exec
v_accvgpr_read_b32 v[vgprValuC+14], acc44 // copy acc to vreg[56]
v_accvgpr_read_b32 v[vgprValuC+18], acc60 // copy acc to vreg[57]
s_nop 1                                            // 2 wait states required before reading vgpr

/* rC *= alpha batchElements=[(7, 0, 0, 0), (7, 1, 0, 0)] */
v_mul_f32 v[vgprValuC+14], s[sgprAlpha], v[vgprValuC+14] // *= alpha
v_mul_f32 v[vgprValuC+18], s[sgprAlpha], v[vgprValuC+18] // *= alpha
s_waitcnt vmcnt(0)                                 // wait C

/* apply mask, calc new C and issue writes */
s_mov_b64 exec, s[40:41]                           // sgprs -> exec
_v_mac_f32 v[vgprValuC+14], v11, s[sgprBeta]       // finalSum = sum*alpha + C*beta
_global_store_b32 v[12:13], v14, off               // store D
s_mov_b64 exec, s[42:43]                           // sgprs -> exec
_v_mac_f32 v[vgprValuC+18], v15, s[sgprBeta]       // finalSum = sum*alpha + C*beta
_global_store_b32 v[16:17], v18, off               // store D
s_mov_b64 exec, -1                                 // full mask -> exec
s_nop 0                                            // 1 wait state required when next inst writes vgprs held by previous dwordx4 store inst
/* optSingleColVgpr=0 optSharedColVgpr=0 optSGPRUsage=None optSrdIncForRow=0 */

/******************************************/
/* Global Write Alpha Beta Edge Batch #29 (d1,d0,vc1,vc0) = */
/*    (7,0,1,0:vw1); (7,1,1,0:vw1)        */
/******************************************/

/* calc coords, apply mask, and issue loads (if necessary) */
/* (d1,vc1,d0,vc0)=(7,1,0,0) */
_v_add_co_u32 v1, vcc, v1, 1                       // coord1.1: coord1Vgpr += d1*sg1*VW + vc1
GLOBAL_OFFSET_C 12, 0, 1, sgprWorkGroup2, 8
v_mov_b32 v8, v12                                  // temp store offset 0
v_mov_b32 v9, v13                                  // temp store offset 1
v_cmp_lt_u32 s[36:37], v0, s[sgprSizesFree+0]      // coord0 < size0
v_cmp_lt_u32 s[38:39], v1, s[sgprSizesFree+1]      // coord1 < size1
s_and_b64 s[40:41], s[36:37], s[38:39]             // in0 && in1
s_mov_b64 exec, s[40:41]                           // sgprs -> exec
_v_add_co_u32 v12, vcc, v4, v8                     // addrVgpr = C + index*bytes (lo)
_v_addc_co_u32 v13, vcc, v5, v9, vcc               // addrVgpr = C + index*bytes (hi)
_global_load_b32 v11, v[12:13], off, offset:0      // load C for beta calc
GLOBAL_OFFSET_D 12, 0, 1, sgprWorkGroup2, 8
v_mov_b32 v8, v12                                  // temp store offset 0
v_mov_b32 v9, v13                                  // temp store offset 1
v_cmp_lt_u32 s[36:37], v0, s[sgprSizesFree+0]      // coord0 < size0
v_cmp_lt_u32 s[38:39], v1, s[sgprSizesFree+1]      // coord1 < size1
s_and_b64 s[40:41], s[36:37], s[38:39]             // in0 && in1
s_mov_b64 exec, s[40:41]                           // sgprs -> exec
_v_add_co_u32 v12, vcc, v2, v8                     // addrVgpr = D + index*bytes (lo)
_v_addc_co_u32 v13, vcc, v3, v9, vcc               // addrVgpr = D + index*bytes (hi)
s_mov_b64 exec, -1                                 // full mask -1 -> exec
/* (d1,vc1,d0,vc0)=(7,1,1,0) */
_v_add_co_u32 v6, vcc, v0, 64                      // coord0.1: coord0 += d0*sg0*VW + vc0
GLOBAL_OFFSET_C 16, 6, 1, sgprWorkGroup2, 8
v_mov_b32 v8, v16                                  // temp store offset 0
v_mov_b32 v9, v17                                  // temp store offset 1
v_cmp_lt_u32 s[36:37], v6, s[sgprSizesFree+0]      // coord0 < size0
v_cmp_lt_u32 s[38:39], v1, s[sgprSizesFree+1]      // coord1 < size1
s_and_b64 s[42:43], s[36:37], s[38:39]             // in0 && in1
s_mov_b64 exec, s[42:43]                           // sgprs -> exec
_v_add_co_u32 v16, vcc, v4, v8                     // addrVgpr = C + index*bytes (lo)
_v_addc_co_u32 v17, vcc, v5, v9, vcc               // addrVgpr = C + index*bytes (hi)
_global_load_b32 v15, v[16:17], off, offset:0      // load C for beta calc
GLOBAL_OFFSET_D 16, 6, 1, sgprWorkGroup2, 8
v_mov_b32 v8, v16                                  // temp store offset 0
v_mov_b32 v9, v17                                  // temp store offset 1
v_cmp_lt_u32 s[36:37], v6, s[sgprSizesFree+0]      // coord0 < size0
v_cmp_lt_u32 s[38:39], v1, s[sgprSizesFree+1]      // coord1 < size1
s_and_b64 s[42:43], s[36:37], s[38:39]             // in0 && in1
s_mov_b64 exec, s[42:43]                           // sgprs -> exec
_v_add_co_u32 v16, vcc, v2, v8                     // addrVgpr = D + index*bytes (lo)
_v_addc_co_u32 v17, vcc, v3, v9, vcc               // addrVgpr = D + index*bytes (hi)
s_mov_b64 exec, -1                                 // full mask -1 -> exec
v_accvgpr_read_b32 v[vgprValuC+14], acc45 // copy acc to vreg[58]
v_accvgpr_read_b32 v[vgprValuC+18], acc61 // copy acc to vreg[59]
s_nop 1                                            // 2 wait states required before reading vgpr

/* rC *= alpha batchElements=[(7, 0, 1, 0), (7, 1, 1, 0)] */
v_mul_f32 v[vgprValuC+14], s[sgprAlpha], v[vgprValuC+14] // *= alpha
v_mul_f32 v[vgprValuC+18], s[sgprAlpha], v[vgprValuC+18] // *= alpha
s_waitcnt vmcnt(0)                                 // wait C

/* apply mask, calc new C and issue writes */
s_mov_b64 exec, s[40:41]                           // sgprs -> exec
_v_mac_f32 v[vgprValuC+14], v11, s[sgprBeta]       // finalSum = sum*alpha + C*beta
_global_store_b32 v[12:13], v14, off               // store D
s_mov_b64 exec, s[42:43]                           // sgprs -> exec
_v_mac_f32 v[vgprValuC+18], v15, s[sgprBeta]       // finalSum = sum*alpha + C*beta
_global_store_b32 v[16:17], v18, off               // store D
s_mov_b64 exec, -1                                 // full mask -> exec
s_nop 0                                            // 1 wait state required when next inst writes vgprs held by previous dwordx4 store inst
/* optSingleColVgpr=0 optSharedColVgpr=0 optSGPRUsage=None optSrdIncForRow=0 */

/******************************************/
/* Global Write Alpha Beta Edge Batch #30 (d1,d0,vc1,vc0) = */
/*    (7,0,2,0:vw1); (7,1,2,0:vw1)        */
/******************************************/

/* calc coords, apply mask, and issue loads (if necessary) */
/* (d1,vc1,d0,vc0)=(7,2,0,0) */
_v_add_co_u32 v1, vcc, v1, 1                       // coord1.1: coord1Vgpr += d1*sg1*VW + vc1
GLOBAL_OFFSET_C 12, 0, 1, sgprWorkGroup2, 8
v_mov_b32 v8, v12                                  // temp store offset 0
v_mov_b32 v9, v13                                  // temp store offset 1
v_cmp_lt_u32 s[36:37], v0, s[sgprSizesFree+0]      // coord0 < size0
v_cmp_lt_u32 s[38:39], v1, s[sgprSizesFree+1]      // coord1 < size1
s_and_b64 s[40:41], s[36:37], s[38:39]             // in0 && in1
s_mov_b64 exec, s[40:41]                           // sgprs -> exec
_v_add_co_u32 v12, vcc, v4, v8                     // addrVgpr = C + index*bytes (lo)
_v_addc_co_u32 v13, vcc, v5, v9, vcc               // addrVgpr = C + index*bytes (hi)
_global_load_b32 v11, v[12:13], off, offset:0      // load C for beta calc
GLOBAL_OFFSET_D 12, 0, 1, sgprWorkGroup2, 8
v_mov_b32 v8, v12                                  // temp store offset 0
v_mov_b32 v9, v13                                  // temp store offset 1
v_cmp_lt_u32 s[36:37], v0, s[sgprSizesFree+0]      // coord0 < size0
v_cmp_lt_u32 s[38:39], v1, s[sgprSizesFree+1]      // coord1 < size1
s_and_b64 s[40:41], s[36:37], s[38:39]             // in0 && in1
s_mov_b64 exec, s[40:41]                           // sgprs -> exec
_v_add_co_u32 v12, vcc, v2, v8                     // addrVgpr = D + index*bytes (lo)
_v_addc_co_u32 v13, vcc, v3, v9, vcc               // addrVgpr = D + index*bytes (hi)
s_mov_b64 exec, -1                                 // full mask -1 -> exec
/* (d1,vc1,d0,vc0)=(7,2,1,0) */
_v_add_co_u32 v6, vcc, v0, 64                      // coord0.1: coord0 += d0*sg0*VW + vc0
GLOBAL_OFFSET_C 16, 6, 1, sgprWorkGroup2, 8
v_mov_b32 v8, v16                                  // temp store offset 0
v_mov_b32 v9, v17                                  // temp store offset 1
v_cmp_lt_u32 s[36:37], v6, s[sgprSizesFree+0]      // coord0 < size0
v_cmp_lt_u32 s[38:39], v1, s[sgprSizesFree+1]      // coord1 < size1
s_and_b64 s[42:43], s[36:37], s[38:39]             // in0 && in1
s_mov_b64 exec, s[42:43]                           // sgprs -> exec
_v_add_co_u32 v16, vcc, v4, v8                     // addrVgpr = C + index*bytes (lo)
_v_addc_co_u32 v17, vcc, v5, v9, vcc               // addrVgpr = C + index*bytes (hi)
_global_load_b32 v15, v[16:17], off, offset:0      // load C for beta calc
GLOBAL_OFFSET_D 16, 6, 1, sgprWorkGroup2, 8
v_mov_b32 v8, v16                                  // temp store offset 0
v_mov_b32 v9, v17                                  // temp store offset 1
v_cmp_lt_u32 s[36:37], v6, s[sgprSizesFree+0]      // coord0 < size0
v_cmp_lt_u32 s[38:39], v1, s[sgprSizesFree+1]      // coord1 < size1
s_and_b64 s[42:43], s[36:37], s[38:39]             // in0 && in1
s_mov_b64 exec, s[42:43]                           // sgprs -> exec
_v_add_co_u32 v16, vcc, v2, v8                     // addrVgpr = D + index*bytes (lo)
_v_addc_co_u32 v17, vcc, v3, v9, vcc               // addrVgpr = D + index*bytes (hi)
s_mov_b64 exec, -1                                 // full mask -1 -> exec
v_accvgpr_read_b32 v[vgprValuC+14], acc46 // copy acc to vreg[60]
v_accvgpr_read_b32 v[vgprValuC+18], acc62 // copy acc to vreg[61]
s_nop 1                                            // 2 wait states required before reading vgpr

/* rC *= alpha batchElements=[(7, 0, 2, 0), (7, 1, 2, 0)] */
v_mul_f32 v[vgprValuC+14], s[sgprAlpha], v[vgprValuC+14] // *= alpha
v_mul_f32 v[vgprValuC+18], s[sgprAlpha], v[vgprValuC+18] // *= alpha
s_waitcnt vmcnt(0)                                 // wait C

/* apply mask, calc new C and issue writes */
s_mov_b64 exec, s[40:41]                           // sgprs -> exec
_v_mac_f32 v[vgprValuC+14], v11, s[sgprBeta]       // finalSum = sum*alpha + C*beta
_global_store_b32 v[12:13], v14, off               // store D
s_mov_b64 exec, s[42:43]                           // sgprs -> exec
_v_mac_f32 v[vgprValuC+18], v15, s[sgprBeta]       // finalSum = sum*alpha + C*beta
_global_store_b32 v[16:17], v18, off               // store D
s_mov_b64 exec, -1                                 // full mask -> exec
s_nop 0                                            // 1 wait state required when next inst writes vgprs held by previous dwordx4 store inst
/* optSingleColVgpr=0 optSharedColVgpr=0 optSGPRUsage=None optSrdIncForRow=0 */

/******************************************/
/* Global Write Alpha Beta Edge Batch #31 (d1,d0,vc1,vc0) = */
/*    (7,0,3,0:vw1); (7,1,3,0:vw1)        */
/******************************************/

/* calc coords, apply mask, and issue loads (if necessary) */
/* (d1,vc1,d0,vc0)=(7,3,0,0) */
_v_add_co_u32 v1, vcc, v1, 1                       // coord1.1: coord1Vgpr += d1*sg1*VW + vc1
GLOBAL_OFFSET_C 12, 0, 1, sgprWorkGroup2, 8
v_mov_b32 v8, v12                                  // temp store offset 0
v_mov_b32 v9, v13                                  // temp store offset 1
v_cmp_lt_u32 s[36:37], v0, s[sgprSizesFree+0]      // coord0 < size0
v_cmp_lt_u32 s[38:39], v1, s[sgprSizesFree+1]      // coord1 < size1
s_and_b64 s[40:41], s[36:37], s[38:39]             // in0 && in1
s_mov_b64 exec, s[40:41]                           // sgprs -> exec
_v_add_co_u32 v12, vcc, v4, v8                     // addrVgpr = C + index*bytes (lo)
_v_addc_co_u32 v13, vcc, v5, v9, vcc               // addrVgpr = C + index*bytes (hi)
_global_load_b32 v11, v[12:13], off, offset:0      // load C for beta calc
GLOBAL_OFFSET_D 12, 0, 1, sgprWorkGroup2, 8
v_mov_b32 v8, v12                                  // temp store offset 0
v_mov_b32 v9, v13                                  // temp store offset 1
v_cmp_lt_u32 s[36:37], v0, s[sgprSizesFree+0]      // coord0 < size0
v_cmp_lt_u32 s[38:39], v1, s[sgprSizesFree+1]      // coord1 < size1
s_and_b64 s[40:41], s[36:37], s[38:39]             // in0 && in1
s_mov_b64 exec, s[40:41]                           // sgprs -> exec
_v_add_co_u32 v12, vcc, v2, v8                     // addrVgpr = D + index*bytes (lo)
_v_addc_co_u32 v13, vcc, v3, v9, vcc               // addrVgpr = D + index*bytes (hi)
s_mov_b64 exec, -1                                 // full mask -1 -> exec
/* (d1,vc1,d0,vc0)=(7,3,1,0) */
_v_add_co_u32 v6, vcc, v0, 64                      // coord0.1: coord0 += d0*sg0*VW + vc0
GLOBAL_OFFSET_C 16, 6, 1, sgprWorkGroup2, 8
v_mov_b32 v8, v16                                  // temp store offset 0
v_mov_b32 v9, v17                                  // temp store offset 1
v_cmp_lt_u32 s[36:37], v6, s[sgprSizesFree+0]      // coord0 < size0
v_cmp_lt_u32 s[38:39], v1, s[sgprSizesFree+1]      // coord1 < size1
s_and_b64 s[42:43], s[36:37], s[38:39]             // in0 && in1
s_mov_b64 exec, s[42:43]                           // sgprs -> exec
_v_add_co_u32 v16, vcc, v4, v8                     // addrVgpr = C + index*bytes (lo)
_v_addc_co_u32 v17, vcc, v5, v9, vcc               // addrVgpr = C + index*bytes (hi)
_global_load_b32 v15, v[16:17], off, offset:0      // load C for beta calc
GLOBAL_OFFSET_D 16, 6, 1, sgprWorkGroup2, 8
v_mov_b32 v8, v16                                  // temp store offset 0
v_mov_b32 v9, v17                                  // temp store offset 1
v_cmp_lt_u32 s[36:37], v6, s[sgprSizesFree+0]      // coord0 < size0
v_cmp_lt_u32 s[38:39], v1, s[sgprSizesFree+1]      // coord1 < size1
s_and_b64 s[42:43], s[36:37], s[38:39]             // in0 && in1
s_mov_b64 exec, s[42:43]                           // sgprs -> exec
_v_add_co_u32 v16, vcc, v2, v8                     // addrVgpr = D + index*bytes (lo)
_v_addc_co_u32 v17, vcc, v3, v9, vcc               // addrVgpr = D + index*bytes (hi)
s_mov_b64 exec, -1                                 // full mask -1 -> exec
v_accvgpr_read_b32 v[vgprValuC+14], acc47 // copy acc to vreg[62]
v_accvgpr_read_b32 v[vgprValuC+18], acc63 // copy acc to vreg[63]
s_nop 1                                            // 2 wait states required before reading vgpr

/* rC *= alpha batchElements=[(7, 0, 3, 0), (7, 1, 3, 0)] */
v_mul_f32 v[vgprValuC+14], s[sgprAlpha], v[vgprValuC+14] // *= alpha
v_mul_f32 v[vgprValuC+18], s[sgprAlpha], v[vgprValuC+18] // *= alpha
s_waitcnt vmcnt(0)                                 // wait C

/* apply mask, calc new C and issue writes */
s_mov_b64 exec, s[40:41]                           // sgprs -> exec
_v_mac_f32 v[vgprValuC+14], v11, s[sgprBeta]       // finalSum = sum*alpha + C*beta
_global_store_b32 v[12:13], v14, off               // store D
s_mov_b64 exec, s[42:43]                           // sgprs -> exec
_v_mac_f32 v[vgprValuC+18], v15, s[sgprBeta]       // finalSum = sum*alpha + C*beta
_global_store_b32 v[16:17], v18, off               // store D
s_mov_b64 exec, -1                                 // full mask -> exec
s_nop 0                                            // 1 wait state required when next inst writes vgprs held by previous dwordx4 store inst
s_branch label_GW_End_32                           // jump to end
label_GW_End_32:

label_0037:  /// KernelEnd
s_endpgm                                           // Kernel End

